;; amdgpu-corpus repo=ROCm/rocFFT kind=compiled arch=gfx1100 opt=O3
	.text
	.amdgcn_target "amdgcn-amd-amdhsa--gfx1100"
	.amdhsa_code_object_version 6
	.protected	fft_rtc_back_len2430_factors_10_3_3_3_3_3_wgs_81_tpt_81_halfLds_dp_op_CI_CI_sbrr_dirReg ; -- Begin function fft_rtc_back_len2430_factors_10_3_3_3_3_3_wgs_81_tpt_81_halfLds_dp_op_CI_CI_sbrr_dirReg
	.globl	fft_rtc_back_len2430_factors_10_3_3_3_3_3_wgs_81_tpt_81_halfLds_dp_op_CI_CI_sbrr_dirReg
	.p2align	8
	.type	fft_rtc_back_len2430_factors_10_3_3_3_3_3_wgs_81_tpt_81_halfLds_dp_op_CI_CI_sbrr_dirReg,@function
fft_rtc_back_len2430_factors_10_3_3_3_3_3_wgs_81_tpt_81_halfLds_dp_op_CI_CI_sbrr_dirReg: ; @fft_rtc_back_len2430_factors_10_3_3_3_3_3_wgs_81_tpt_81_halfLds_dp_op_CI_CI_sbrr_dirReg
; %bb.0:
	s_clause 0x2
	s_load_b128 s[16:19], s[0:1], 0x18
	s_load_b128 s[8:11], s[0:1], 0x0
	;; [unrolled: 1-line block ×3, first 2 shown]
	v_mul_u32_u24_e32 v1, 0x32a, v0
	v_mov_b32_e32 v4, 0
	v_mov_b32_e32 v5, 0
	s_waitcnt lgkmcnt(0)
	s_load_b64 s[20:21], s[16:17], 0x0
	s_load_b64 s[12:13], s[18:19], 0x0
	v_lshrrev_b32_e32 v2, 16, v1
	v_mov_b32_e32 v1, 0
	v_cmp_lt_u64_e64 s2, s[10:11], 2
	s_delay_alu instid0(VALU_DEP_2) | instskip(NEXT) | instid1(VALU_DEP_2)
	v_dual_mov_b32 v7, v1 :: v_dual_add_nc_u32 v6, s15, v2
	s_and_b32 vcc_lo, exec_lo, s2
	s_cbranch_vccnz .LBB0_8
; %bb.1:
	s_load_b64 s[2:3], s[0:1], 0x10
	v_mov_b32_e32 v4, 0
	v_mov_b32_e32 v5, 0
	s_add_u32 s14, s18, 8
	s_addc_u32 s15, s19, 0
	s_add_u32 s22, s16, 8
	s_addc_u32 s23, s17, 0
	v_dual_mov_b32 v133, v5 :: v_dual_mov_b32 v132, v4
	s_mov_b64 s[26:27], 1
	s_waitcnt lgkmcnt(0)
	s_add_u32 s24, s2, 8
	s_addc_u32 s25, s3, 0
.LBB0_2:                                ; =>This Inner Loop Header: Depth=1
	s_load_b64 s[28:29], s[24:25], 0x0
                                        ; implicit-def: $vgpr134_vgpr135
	s_mov_b32 s2, exec_lo
	s_waitcnt lgkmcnt(0)
	v_or_b32_e32 v2, s29, v7
	s_delay_alu instid0(VALU_DEP_1)
	v_cmpx_ne_u64_e32 0, v[1:2]
	s_xor_b32 s3, exec_lo, s2
	s_cbranch_execz .LBB0_4
; %bb.3:                                ;   in Loop: Header=BB0_2 Depth=1
	v_cvt_f32_u32_e32 v2, s28
	v_cvt_f32_u32_e32 v3, s29
	s_sub_u32 s2, 0, s28
	s_subb_u32 s30, 0, s29
	s_delay_alu instid0(VALU_DEP_1) | instskip(NEXT) | instid1(VALU_DEP_1)
	v_fmac_f32_e32 v2, 0x4f800000, v3
	v_rcp_f32_e32 v2, v2
	s_waitcnt_depctr 0xfff
	v_mul_f32_e32 v2, 0x5f7ffffc, v2
	s_delay_alu instid0(VALU_DEP_1) | instskip(NEXT) | instid1(VALU_DEP_1)
	v_mul_f32_e32 v3, 0x2f800000, v2
	v_trunc_f32_e32 v3, v3
	s_delay_alu instid0(VALU_DEP_1) | instskip(SKIP_1) | instid1(VALU_DEP_2)
	v_fmac_f32_e32 v2, 0xcf800000, v3
	v_cvt_u32_f32_e32 v3, v3
	v_cvt_u32_f32_e32 v2, v2
	s_delay_alu instid0(VALU_DEP_2) | instskip(NEXT) | instid1(VALU_DEP_2)
	v_mul_lo_u32 v8, s2, v3
	v_mul_hi_u32 v9, s2, v2
	v_mul_lo_u32 v10, s30, v2
	s_delay_alu instid0(VALU_DEP_2) | instskip(SKIP_1) | instid1(VALU_DEP_2)
	v_add_nc_u32_e32 v8, v9, v8
	v_mul_lo_u32 v9, s2, v2
	v_add_nc_u32_e32 v8, v8, v10
	s_delay_alu instid0(VALU_DEP_2) | instskip(NEXT) | instid1(VALU_DEP_2)
	v_mul_hi_u32 v10, v2, v9
	v_mul_lo_u32 v11, v2, v8
	v_mul_hi_u32 v12, v2, v8
	v_mul_hi_u32 v13, v3, v9
	v_mul_lo_u32 v9, v3, v9
	v_mul_hi_u32 v14, v3, v8
	v_mul_lo_u32 v8, v3, v8
	v_add_co_u32 v10, vcc_lo, v10, v11
	v_add_co_ci_u32_e32 v11, vcc_lo, 0, v12, vcc_lo
	s_delay_alu instid0(VALU_DEP_2) | instskip(NEXT) | instid1(VALU_DEP_2)
	v_add_co_u32 v9, vcc_lo, v10, v9
	v_add_co_ci_u32_e32 v9, vcc_lo, v11, v13, vcc_lo
	v_add_co_ci_u32_e32 v10, vcc_lo, 0, v14, vcc_lo
	s_delay_alu instid0(VALU_DEP_2) | instskip(NEXT) | instid1(VALU_DEP_2)
	v_add_co_u32 v8, vcc_lo, v9, v8
	v_add_co_ci_u32_e32 v9, vcc_lo, 0, v10, vcc_lo
	s_delay_alu instid0(VALU_DEP_2) | instskip(NEXT) | instid1(VALU_DEP_2)
	v_add_co_u32 v2, vcc_lo, v2, v8
	v_add_co_ci_u32_e32 v3, vcc_lo, v3, v9, vcc_lo
	s_delay_alu instid0(VALU_DEP_2) | instskip(SKIP_1) | instid1(VALU_DEP_3)
	v_mul_hi_u32 v8, s2, v2
	v_mul_lo_u32 v10, s30, v2
	v_mul_lo_u32 v9, s2, v3
	s_delay_alu instid0(VALU_DEP_1) | instskip(SKIP_1) | instid1(VALU_DEP_2)
	v_add_nc_u32_e32 v8, v8, v9
	v_mul_lo_u32 v9, s2, v2
	v_add_nc_u32_e32 v8, v8, v10
	s_delay_alu instid0(VALU_DEP_2) | instskip(NEXT) | instid1(VALU_DEP_2)
	v_mul_hi_u32 v10, v2, v9
	v_mul_lo_u32 v11, v2, v8
	v_mul_hi_u32 v12, v2, v8
	v_mul_hi_u32 v13, v3, v9
	v_mul_lo_u32 v9, v3, v9
	v_mul_hi_u32 v14, v3, v8
	v_mul_lo_u32 v8, v3, v8
	v_add_co_u32 v10, vcc_lo, v10, v11
	v_add_co_ci_u32_e32 v11, vcc_lo, 0, v12, vcc_lo
	s_delay_alu instid0(VALU_DEP_2) | instskip(NEXT) | instid1(VALU_DEP_2)
	v_add_co_u32 v9, vcc_lo, v10, v9
	v_add_co_ci_u32_e32 v9, vcc_lo, v11, v13, vcc_lo
	v_add_co_ci_u32_e32 v10, vcc_lo, 0, v14, vcc_lo
	s_delay_alu instid0(VALU_DEP_2) | instskip(NEXT) | instid1(VALU_DEP_2)
	v_add_co_u32 v8, vcc_lo, v9, v8
	v_add_co_ci_u32_e32 v9, vcc_lo, 0, v10, vcc_lo
	s_delay_alu instid0(VALU_DEP_2) | instskip(NEXT) | instid1(VALU_DEP_2)
	v_add_co_u32 v10, vcc_lo, v2, v8
	v_add_co_ci_u32_e32 v12, vcc_lo, v3, v9, vcc_lo
	s_delay_alu instid0(VALU_DEP_2) | instskip(SKIP_1) | instid1(VALU_DEP_3)
	v_mul_hi_u32 v13, v6, v10
	v_mad_u64_u32 v[8:9], null, v7, v10, 0
	v_mad_u64_u32 v[2:3], null, v6, v12, 0
	;; [unrolled: 1-line block ×3, first 2 shown]
	s_delay_alu instid0(VALU_DEP_2) | instskip(NEXT) | instid1(VALU_DEP_3)
	v_add_co_u32 v2, vcc_lo, v13, v2
	v_add_co_ci_u32_e32 v3, vcc_lo, 0, v3, vcc_lo
	s_delay_alu instid0(VALU_DEP_2) | instskip(NEXT) | instid1(VALU_DEP_2)
	v_add_co_u32 v2, vcc_lo, v2, v8
	v_add_co_ci_u32_e32 v2, vcc_lo, v3, v9, vcc_lo
	v_add_co_ci_u32_e32 v3, vcc_lo, 0, v11, vcc_lo
	s_delay_alu instid0(VALU_DEP_2) | instskip(NEXT) | instid1(VALU_DEP_2)
	v_add_co_u32 v8, vcc_lo, v2, v10
	v_add_co_ci_u32_e32 v9, vcc_lo, 0, v3, vcc_lo
	s_delay_alu instid0(VALU_DEP_2) | instskip(SKIP_1) | instid1(VALU_DEP_3)
	v_mul_lo_u32 v10, s29, v8
	v_mad_u64_u32 v[2:3], null, s28, v8, 0
	v_mul_lo_u32 v11, s28, v9
	s_delay_alu instid0(VALU_DEP_2) | instskip(NEXT) | instid1(VALU_DEP_2)
	v_sub_co_u32 v2, vcc_lo, v6, v2
	v_add3_u32 v3, v3, v11, v10
	s_delay_alu instid0(VALU_DEP_1) | instskip(NEXT) | instid1(VALU_DEP_1)
	v_sub_nc_u32_e32 v10, v7, v3
	v_subrev_co_ci_u32_e64 v10, s2, s29, v10, vcc_lo
	v_add_co_u32 v11, s2, v8, 2
	s_delay_alu instid0(VALU_DEP_1) | instskip(SKIP_3) | instid1(VALU_DEP_3)
	v_add_co_ci_u32_e64 v12, s2, 0, v9, s2
	v_sub_co_u32 v13, s2, v2, s28
	v_sub_co_ci_u32_e32 v3, vcc_lo, v7, v3, vcc_lo
	v_subrev_co_ci_u32_e64 v10, s2, 0, v10, s2
	v_cmp_le_u32_e32 vcc_lo, s28, v13
	s_delay_alu instid0(VALU_DEP_3) | instskip(SKIP_1) | instid1(VALU_DEP_4)
	v_cmp_eq_u32_e64 s2, s29, v3
	v_cndmask_b32_e64 v13, 0, -1, vcc_lo
	v_cmp_le_u32_e32 vcc_lo, s29, v10
	v_cndmask_b32_e64 v14, 0, -1, vcc_lo
	v_cmp_le_u32_e32 vcc_lo, s28, v2
	;; [unrolled: 2-line block ×3, first 2 shown]
	v_cndmask_b32_e64 v15, 0, -1, vcc_lo
	v_cmp_eq_u32_e32 vcc_lo, s29, v10
	s_delay_alu instid0(VALU_DEP_2) | instskip(SKIP_3) | instid1(VALU_DEP_3)
	v_cndmask_b32_e64 v2, v15, v2, s2
	v_cndmask_b32_e32 v10, v14, v13, vcc_lo
	v_add_co_u32 v13, vcc_lo, v8, 1
	v_add_co_ci_u32_e32 v14, vcc_lo, 0, v9, vcc_lo
	v_cmp_ne_u32_e32 vcc_lo, 0, v10
	s_delay_alu instid0(VALU_DEP_2) | instskip(SKIP_1) | instid1(VALU_DEP_2)
	v_dual_cndmask_b32 v3, v14, v12 :: v_dual_cndmask_b32 v10, v13, v11
	v_cmp_ne_u32_e32 vcc_lo, 0, v2
	v_dual_cndmask_b32 v135, v9, v3 :: v_dual_cndmask_b32 v134, v8, v10
.LBB0_4:                                ;   in Loop: Header=BB0_2 Depth=1
	s_and_not1_saveexec_b32 s2, s3
	s_cbranch_execz .LBB0_6
; %bb.5:                                ;   in Loop: Header=BB0_2 Depth=1
	v_cvt_f32_u32_e32 v2, s28
	s_sub_i32 s3, 0, s28
	v_mov_b32_e32 v135, v1
	s_delay_alu instid0(VALU_DEP_2) | instskip(SKIP_2) | instid1(VALU_DEP_1)
	v_rcp_iflag_f32_e32 v2, v2
	s_waitcnt_depctr 0xfff
	v_mul_f32_e32 v2, 0x4f7ffffe, v2
	v_cvt_u32_f32_e32 v2, v2
	s_delay_alu instid0(VALU_DEP_1) | instskip(NEXT) | instid1(VALU_DEP_1)
	v_mul_lo_u32 v3, s3, v2
	v_mul_hi_u32 v3, v2, v3
	s_delay_alu instid0(VALU_DEP_1) | instskip(NEXT) | instid1(VALU_DEP_1)
	v_add_nc_u32_e32 v2, v2, v3
	v_mul_hi_u32 v2, v6, v2
	s_delay_alu instid0(VALU_DEP_1) | instskip(SKIP_1) | instid1(VALU_DEP_2)
	v_mul_lo_u32 v3, v2, s28
	v_add_nc_u32_e32 v8, 1, v2
	v_sub_nc_u32_e32 v3, v6, v3
	s_delay_alu instid0(VALU_DEP_1) | instskip(SKIP_1) | instid1(VALU_DEP_2)
	v_subrev_nc_u32_e32 v9, s28, v3
	v_cmp_le_u32_e32 vcc_lo, s28, v3
	v_dual_cndmask_b32 v3, v3, v9 :: v_dual_cndmask_b32 v2, v2, v8
	s_delay_alu instid0(VALU_DEP_1) | instskip(NEXT) | instid1(VALU_DEP_2)
	v_cmp_le_u32_e32 vcc_lo, s28, v3
	v_add_nc_u32_e32 v8, 1, v2
	s_delay_alu instid0(VALU_DEP_1)
	v_cndmask_b32_e32 v134, v2, v8, vcc_lo
.LBB0_6:                                ;   in Loop: Header=BB0_2 Depth=1
	s_or_b32 exec_lo, exec_lo, s2
	s_delay_alu instid0(VALU_DEP_1) | instskip(NEXT) | instid1(VALU_DEP_2)
	v_mul_lo_u32 v8, v135, s28
	v_mul_lo_u32 v9, v134, s29
	s_load_b64 s[2:3], s[22:23], 0x0
	v_mad_u64_u32 v[2:3], null, v134, s28, 0
	s_load_b64 s[28:29], s[14:15], 0x0
	s_add_u32 s26, s26, 1
	s_addc_u32 s27, s27, 0
	s_add_u32 s14, s14, 8
	s_addc_u32 s15, s15, 0
	s_add_u32 s22, s22, 8
	s_delay_alu instid0(VALU_DEP_1) | instskip(SKIP_3) | instid1(VALU_DEP_2)
	v_add3_u32 v3, v3, v9, v8
	v_sub_co_u32 v8, vcc_lo, v6, v2
	s_addc_u32 s23, s23, 0
	s_add_u32 s24, s24, 8
	v_sub_co_ci_u32_e32 v6, vcc_lo, v7, v3, vcc_lo
	s_addc_u32 s25, s25, 0
	s_waitcnt lgkmcnt(0)
	s_delay_alu instid0(VALU_DEP_1)
	v_mul_lo_u32 v9, s2, v6
	v_mul_lo_u32 v10, s3, v8
	v_mad_u64_u32 v[2:3], null, s2, v8, v[4:5]
	v_mul_lo_u32 v11, s28, v6
	v_mul_lo_u32 v12, s29, v8
	v_mad_u64_u32 v[6:7], null, s28, v8, v[132:133]
	v_cmp_ge_u64_e64 s2, s[26:27], s[10:11]
	v_add3_u32 v5, v10, v3, v9
	v_mov_b32_e32 v4, v2
	s_delay_alu instid0(VALU_DEP_4)
	v_add3_u32 v133, v12, v7, v11
	v_mov_b32_e32 v132, v6
	s_and_b32 vcc_lo, exec_lo, s2
	s_cbranch_vccnz .LBB0_9
; %bb.7:                                ;   in Loop: Header=BB0_2 Depth=1
	v_dual_mov_b32 v6, v134 :: v_dual_mov_b32 v7, v135
	s_branch .LBB0_2
.LBB0_8:
	v_dual_mov_b32 v133, v5 :: v_dual_mov_b32 v132, v4
	s_delay_alu instid0(VALU_DEP_2)
	v_dual_mov_b32 v135, v7 :: v_dual_mov_b32 v134, v6
.LBB0_9:
	s_load_b64 s[0:1], s[0:1], 0x28
	v_mul_hi_u32 v1, 0x3291620, v0
	s_lshl_b64 s[10:11], s[10:11], 3
                                        ; implicit-def: $vgpr170
                                        ; implicit-def: $vgpr174
                                        ; implicit-def: $vgpr177
                                        ; implicit-def: $vgpr171
                                        ; implicit-def: $vgpr175
                                        ; implicit-def: $vgpr178
                                        ; implicit-def: $vgpr172
                                        ; implicit-def: $vgpr176
                                        ; implicit-def: $vgpr179
                                        ; implicit-def: $vgpr173
	s_delay_alu instid0(SALU_CYCLE_1) | instskip(SKIP_4) | instid1(VALU_DEP_1)
	s_add_u32 s2, s18, s10
	s_addc_u32 s3, s19, s11
	s_waitcnt lgkmcnt(0)
	v_cmp_gt_u64_e32 vcc_lo, s[0:1], v[134:135]
	v_cmp_le_u64_e64 s0, s[0:1], v[134:135]
	s_and_saveexec_b32 s1, s0
	s_delay_alu instid0(SALU_CYCLE_1)
	s_xor_b32 s0, exec_lo, s1
; %bb.10:
	v_mul_u32_u24_e32 v1, 0x51, v1
                                        ; implicit-def: $vgpr4_vgpr5
	s_delay_alu instid0(VALU_DEP_1) | instskip(NEXT) | instid1(VALU_DEP_1)
	v_sub_nc_u32_e32 v170, v0, v1
                                        ; implicit-def: $vgpr1
                                        ; implicit-def: $vgpr0
	v_add_nc_u32_e32 v174, 0x51, v170
	v_add_nc_u32_e32 v177, 0xa2, v170
	;; [unrolled: 1-line block ×9, first 2 shown]
; %bb.11:
	s_or_saveexec_b32 s1, s0
                                        ; implicit-def: $vgpr18_vgpr19
                                        ; implicit-def: $vgpr14_vgpr15
                                        ; implicit-def: $vgpr42_vgpr43
                                        ; implicit-def: $vgpr46_vgpr47
                                        ; implicit-def: $vgpr58_vgpr59
                                        ; implicit-def: $vgpr70_vgpr71
                                        ; implicit-def: $vgpr54_vgpr55
                                        ; implicit-def: $vgpr66_vgpr67
                                        ; implicit-def: $vgpr62_vgpr63
                                        ; implicit-def: $vgpr74_vgpr75
                                        ; implicit-def: $vgpr22_vgpr23
                                        ; implicit-def: $vgpr26_vgpr27
                                        ; implicit-def: $vgpr50_vgpr51
                                        ; implicit-def: $vgpr86_vgpr87
                                        ; implicit-def: $vgpr78_vgpr79
                                        ; implicit-def: $vgpr94_vgpr95
                                        ; implicit-def: $vgpr82_vgpr83
                                        ; implicit-def: $vgpr98_vgpr99
                                        ; implicit-def: $vgpr90_vgpr91
                                        ; implicit-def: $vgpr102_vgpr103
                                        ; implicit-def: $vgpr30_vgpr31
                                        ; implicit-def: $vgpr34_vgpr35
                                        ; implicit-def: $vgpr106_vgpr107
                                        ; implicit-def: $vgpr110_vgpr111
                                        ; implicit-def: $vgpr114_vgpr115
                                        ; implicit-def: $vgpr118_vgpr119
                                        ; implicit-def: $vgpr10_vgpr11
                                        ; implicit-def: $vgpr38_vgpr39
                                        ; implicit-def: $vgpr2_vgpr3
                                        ; implicit-def: $vgpr6_vgpr7
	s_delay_alu instid0(SALU_CYCLE_1)
	s_xor_b32 exec_lo, exec_lo, s1
	s_cbranch_execz .LBB0_13
; %bb.12:
	s_add_u32 s10, s16, s10
	s_addc_u32 s11, s17, s11
	v_mul_u32_u24_e32 v1, 0x51, v1
	s_load_b64 s[10:11], s[10:11], 0x0
	s_delay_alu instid0(VALU_DEP_1) | instskip(SKIP_1) | instid1(VALU_DEP_2)
	v_sub_nc_u32_e32 v170, v0, v1
	v_lshlrev_b64 v[0:1], 4, v[4:5]
	v_add_nc_u32_e32 v171, 0xf3, v170
	v_mad_u64_u32 v[2:3], null, s20, v170, 0
	v_add_nc_u32_e32 v173, 0x2d9, v170
	v_add_nc_u32_e32 v21, 0x5b2, v170
	s_delay_alu instid0(VALU_DEP_4) | instskip(SKIP_1) | instid1(VALU_DEP_4)
	v_mad_u64_u32 v[4:5], null, s20, v171, 0
	v_add_nc_u32_e32 v172, 0x1e6, v170
	v_mad_u64_u32 v[10:11], null, s20, v173, 0
	s_delay_alu instid0(VALU_DEP_4)
	v_mad_u64_u32 v[19:20], null, s20, v21, 0
	s_waitcnt lgkmcnt(0)
	v_mul_lo_u32 v15, s11, v134
	v_mul_lo_u32 v16, s10, v135
	v_mad_u64_u32 v[8:9], null, s10, v134, 0
	v_mad_u64_u32 v[12:13], null, s21, v170, v[3:4]
	v_mov_b32_e32 v3, v5
	v_mad_u64_u32 v[6:7], null, s20, v172, 0
	v_add_nc_u32_e32 v18, 0x3cc, v170
	v_add3_u32 v9, v9, v16, v15
	s_delay_alu instid0(VALU_DEP_4)
	v_mad_u64_u32 v[15:16], null, s21, v171, v[3:4]
	v_mov_b32_e32 v3, v12
	v_add_nc_u32_e32 v51, 0x603, v170
	v_mov_b32_e32 v5, v7
	v_lshlrev_b64 v[8:9], 4, v[8:9]
	v_mov_b32_e32 v7, v11
	v_mad_u64_u32 v[13:14], null, s20, v18, 0
	s_delay_alu instid0(VALU_DEP_4) | instskip(SKIP_1) | instid1(VALU_DEP_4)
	v_mad_u64_u32 v[11:12], null, s21, v172, v[5:6]
	v_add_nc_u32_e32 v12, 0x4bf, v170
	v_mad_u64_u32 v[16:17], null, s21, v173, v[7:8]
	v_add_co_u32 v7, s0, s4, v8
	s_delay_alu instid0(VALU_DEP_1) | instskip(SKIP_1) | instid1(VALU_DEP_3)
	v_add_co_ci_u32_e64 v8, s0, s5, v9, s0
	v_dual_mov_b32 v5, v15 :: v_dual_add_nc_u32 v28, 0x6a5, v170
	v_add_co_u32 v22, s0, v7, v0
	v_mov_b32_e32 v7, v11
	s_delay_alu instid0(VALU_DEP_4) | instskip(NEXT) | instid1(VALU_DEP_4)
	v_add_co_ci_u32_e64 v23, s0, v8, v1, s0
	v_lshlrev_b64 v[0:1], 4, v[4:5]
	v_dual_mov_b32 v11, v16 :: v_dual_add_nc_u32 v30, 0x798, v170
	s_delay_alu instid0(VALU_DEP_4) | instskip(SKIP_2) | instid1(VALU_DEP_4)
	v_lshlrev_b64 v[5:6], 4, v[6:7]
	v_mov_b32_e32 v4, v14
	v_mad_u64_u32 v[15:16], null, s20, v12, 0
	v_lshlrev_b64 v[7:8], 4, v[10:11]
	v_mad_u64_u32 v[26:27], null, s20, v30, 0
	s_delay_alu instid0(VALU_DEP_4) | instskip(SKIP_3) | instid1(VALU_DEP_4)
	v_mad_u64_u32 v[9:10], null, s21, v18, v[4:5]
	v_mad_u64_u32 v[45:46], null, s20, v51, 0
	v_dual_mov_b32 v4, v16 :: v_dual_add_nc_u32 v47, 0x510, v170
	v_add_nc_u32_e32 v178, 0x195, v170
	v_dual_mov_b32 v14, v9 :: v_dual_add_nc_u32 v31, 0x88b, v170
	v_lshlrev_b64 v[2:3], 4, v[2:3]
	s_delay_alu instid0(VALU_DEP_4) | instskip(SKIP_1) | instid1(VALU_DEP_4)
	v_mad_u64_u32 v[24:25], null, s21, v12, v[4:5]
	v_add_nc_u32_e32 v175, 0x144, v170
	v_lshlrev_b64 v[12:13], 4, v[13:14]
	v_mov_b32_e32 v14, v20
	v_add_co_u32 v2, s0, v22, v2
	s_delay_alu instid0(VALU_DEP_1) | instskip(SKIP_1) | instid1(VALU_DEP_1)
	v_add_co_ci_u32_e64 v3, s0, v23, v3, s0
	v_add_co_u32 v0, s0, v22, v0
	v_add_co_ci_u32_e64 v1, s0, v23, v1, s0
	v_add_co_u32 v10, s0, v22, v5
	s_delay_alu instid0(VALU_DEP_1) | instskip(SKIP_1) | instid1(VALU_DEP_1)
	v_add_co_ci_u32_e64 v11, s0, v23, v6, s0
	v_add_co_u32 v17, s0, v22, v7
	v_add_co_ci_u32_e64 v18, s0, v23, v8, s0
	s_clause 0x3
	global_load_b128 v[4:7], v[2:3], off
	global_load_b128 v[0:3], v[0:1], off
	;; [unrolled: 1-line block ×4, first 2 shown]
	v_mov_b32_e32 v16, v24
	v_mad_u64_u32 v[24:25], null, s20, v28, 0
	v_mad_u64_u32 v[17:18], null, s21, v21, v[14:15]
	s_delay_alu instid0(VALU_DEP_3) | instskip(SKIP_1) | instid1(VALU_DEP_1)
	v_lshlrev_b64 v[14:15], 4, v[15:16]
	v_add_co_u32 v12, s0, v22, v12
	v_add_co_ci_u32_e64 v13, s0, v23, v13, s0
	v_mov_b32_e32 v16, v25
	v_mov_b32_e32 v20, v17
	v_add_co_u32 v14, s0, v22, v14
	s_delay_alu instid0(VALU_DEP_1) | instskip(NEXT) | instid1(VALU_DEP_4)
	v_add_co_ci_u32_e64 v15, s0, v23, v15, s0
	v_mad_u64_u32 v[17:18], null, s21, v28, v[16:17]
	v_mov_b32_e32 v16, v27
	v_mad_u64_u32 v[28:29], null, s20, v31, 0
	v_lshlrev_b64 v[18:19], 4, v[19:20]
	v_add_nc_u32_e32 v174, 0x51, v170
	v_dual_mov_b32 v25, v17 :: v_dual_add_nc_u32 v176, 0x237, v170
	v_mad_u64_u32 v[20:21], null, s21, v30, v[16:17]
	v_mov_b32_e32 v21, v29
	v_add_co_u32 v16, s0, v22, v18
	s_delay_alu instid0(VALU_DEP_1) | instskip(NEXT) | instid1(VALU_DEP_3)
	v_add_co_ci_u32_e64 v17, s0, v23, v19, s0
	v_mad_u64_u32 v[29:30], null, s21, v31, v[21:22]
	v_mov_b32_e32 v27, v20
	v_lshlrev_b64 v[18:19], 4, v[24:25]
	v_mad_u64_u32 v[24:25], null, s20, v174, 0
	v_add_nc_u32_e32 v42, 0x32a, v170
	s_delay_alu instid0(VALU_DEP_4) | instskip(SKIP_4) | instid1(VALU_DEP_1)
	v_lshlrev_b64 v[20:21], 4, v[26:27]
	v_mad_u64_u32 v[26:27], null, s20, v175, 0
	v_lshlrev_b64 v[28:29], 4, v[28:29]
	v_add_nc_u32_e32 v44, 0x41d, v170
	v_add_co_u32 v18, s0, v22, v18
	v_add_co_ci_u32_e64 v19, s0, v23, v19, s0
	v_mad_u64_u32 v[30:31], null, s21, v174, v[25:26]
	v_mad_u64_u32 v[32:33], null, s21, v175, v[27:28]
	v_add_co_u32 v20, s0, v22, v20
	s_delay_alu instid0(VALU_DEP_1) | instskip(NEXT) | instid1(VALU_DEP_4)
	v_add_co_ci_u32_e64 v21, s0, v23, v21, s0
	v_mov_b32_e32 v25, v30
	v_mad_u64_u32 v[30:31], null, s20, v176, 0
	v_mov_b32_e32 v27, v32
	v_mad_u64_u32 v[32:33], null, s20, v42, 0
	s_delay_alu instid0(VALU_DEP_4) | instskip(SKIP_1) | instid1(VALU_DEP_4)
	v_lshlrev_b64 v[24:25], 4, v[24:25]
	v_add_co_u32 v28, s0, v22, v28
	v_lshlrev_b64 v[26:27], 4, v[26:27]
	v_add_co_ci_u32_e64 v29, s0, v23, v29, s0
	v_mad_u64_u32 v[34:35], null, s21, v176, v[31:32]
	v_add_co_u32 v24, s0, v22, v24
	s_delay_alu instid0(VALU_DEP_1) | instskip(SKIP_1) | instid1(VALU_DEP_4)
	v_add_co_ci_u32_e64 v25, s0, v23, v25, s0
	v_add_co_u32 v26, s0, v22, v26
	v_mov_b32_e32 v31, v34
	v_mad_u64_u32 v[34:35], null, s20, v44, 0
	v_add_co_ci_u32_e64 v27, s0, v23, v27, s0
	s_delay_alu instid0(VALU_DEP_3)
	v_lshlrev_b64 v[30:31], 4, v[30:31]
	s_clause 0x3
	global_load_b128 v[116:119], v[12:13], off
	global_load_b128 v[112:115], v[14:15], off
	;; [unrolled: 1-line block ×4, first 2 shown]
	v_add_nc_u32_e32 v54, 0x7e9, v170
	v_mad_u64_u32 v[40:41], null, s21, v42, v[33:34]
	v_add_nc_u32_e32 v177, 0xa2, v170
	v_add_nc_u32_e32 v179, 0x288, v170
	s_delay_alu instid0(VALU_DEP_3) | instskip(SKIP_4) | instid1(VALU_DEP_1)
	v_mov_b32_e32 v33, v40
	v_mad_u64_u32 v[40:41], null, s20, v47, 0
	s_waitcnt vmcnt(5)
	v_mad_u64_u32 v[42:43], null, s21, v44, v[35:36]
	v_add_co_u32 v43, s0, v22, v30
	v_add_co_ci_u32_e64 v44, s0, v23, v31, s0
	v_lshlrev_b64 v[30:31], 4, v[32:33]
	s_delay_alu instid0(VALU_DEP_4) | instskip(NEXT) | instid1(VALU_DEP_1)
	v_dual_mov_b32 v32, v41 :: v_dual_mov_b32 v35, v42
	v_mad_u64_u32 v[41:42], null, s21, v47, v[32:33]
	v_add_nc_u32_e32 v42, 0x6f6, v170
	s_delay_alu instid0(VALU_DEP_4) | instskip(NEXT) | instid1(VALU_DEP_1)
	v_add_co_u32 v47, s0, v22, v30
	v_add_co_ci_u32_e64 v48, s0, v23, v31, s0
	v_lshlrev_b64 v[30:31], 4, v[34:35]
	s_delay_alu instid0(VALU_DEP_4) | instskip(SKIP_1) | instid1(VALU_DEP_1)
	v_mad_u64_u32 v[33:34], null, s20, v42, 0
	v_mov_b32_e32 v32, v46
	v_mad_u64_u32 v[49:50], null, s21, v51, v[32:33]
	s_delay_alu instid0(VALU_DEP_4) | instskip(NEXT) | instid1(VALU_DEP_1)
	v_add_co_u32 v50, s0, v22, v30
	v_add_co_ci_u32_e64 v51, s0, v23, v31, s0
	v_lshlrev_b64 v[30:31], 4, v[40:41]
	v_mov_b32_e32 v32, v34
	v_mad_u64_u32 v[40:41], null, s20, v54, 0
	v_dual_mov_b32 v46, v49 :: v_dual_add_nc_u32 v49, 0x46e, v170
	s_delay_alu instid0(VALU_DEP_3) | instskip(SKIP_2) | instid1(VALU_DEP_1)
	v_mad_u64_u32 v[34:35], null, s21, v42, v[32:33]
	v_add_nc_u32_e32 v35, 0x8dc, v170
	v_add_co_u32 v52, s0, v22, v30
	v_add_co_ci_u32_e64 v53, s0, v23, v31, s0
	v_lshlrev_b64 v[30:31], 4, v[45:46]
	v_mov_b32_e32 v32, v41
	v_mad_u64_u32 v[45:46], null, s20, v35, 0
	s_delay_alu instid0(VALU_DEP_2) | instskip(NEXT) | instid1(VALU_DEP_4)
	v_mad_u64_u32 v[41:42], null, s21, v54, v[32:33]
	v_add_co_u32 v54, s0, v22, v30
	s_delay_alu instid0(VALU_DEP_1) | instskip(SKIP_3) | instid1(VALU_DEP_1)
	v_add_co_ci_u32_e64 v55, s0, v23, v31, s0
	v_lshlrev_b64 v[30:31], 4, v[33:34]
	v_mad_u64_u32 v[33:34], null, s20, v177, 0
	v_mov_b32_e32 v32, v46
	v_mad_u64_u32 v[56:57], null, s21, v35, v[32:33]
	s_delay_alu instid0(VALU_DEP_4) | instskip(NEXT) | instid1(VALU_DEP_1)
	v_add_co_u32 v57, s0, v22, v30
	v_add_co_ci_u32_e64 v58, s0, v23, v31, s0
	v_lshlrev_b64 v[30:31], 4, v[40:41]
	v_mad_u64_u32 v[40:41], null, s20, v178, 0
	v_mov_b32_e32 v32, v34
	v_mov_b32_e32 v46, v56
	v_add_nc_u32_e32 v56, 0x83a, v170
	v_add_co_u32 v59, s0, v22, v30
	s_delay_alu instid0(VALU_DEP_4) | instskip(SKIP_4) | instid1(VALU_DEP_4)
	v_mad_u64_u32 v[34:35], null, s21, v177, v[32:33]
	v_mov_b32_e32 v32, v41
	v_add_co_ci_u32_e64 v60, s0, v23, v31, s0
	v_lshlrev_b64 v[30:31], 4, v[45:46]
	v_mad_u64_u32 v[45:46], null, s20, v179, 0
	v_mad_u64_u32 v[41:42], null, s21, v178, v[32:33]
	v_add_nc_u32_e32 v42, 0x37b, v170
	s_delay_alu instid0(VALU_DEP_4) | instskip(NEXT) | instid1(VALU_DEP_1)
	v_add_co_u32 v61, s0, v22, v30
	v_add_co_ci_u32_e64 v62, s0, v23, v31, s0
	v_lshlrev_b64 v[30:31], 4, v[33:34]
	s_delay_alu instid0(VALU_DEP_4) | instskip(SKIP_1) | instid1(VALU_DEP_1)
	v_mad_u64_u32 v[33:34], null, s20, v42, 0
	v_mov_b32_e32 v32, v46
	v_mad_u64_u32 v[63:64], null, s21, v179, v[32:33]
	s_delay_alu instid0(VALU_DEP_4) | instskip(NEXT) | instid1(VALU_DEP_4)
	v_add_co_u32 v64, s0, v22, v30
	v_mov_b32_e32 v32, v34
	v_add_co_ci_u32_e64 v65, s0, v23, v31, s0
	v_lshlrev_b64 v[30:31], 4, v[40:41]
	v_dual_mov_b32 v46, v63 :: v_dual_add_nc_u32 v63, 0x92d, v170
	v_mad_u64_u32 v[40:41], null, s20, v49, 0
	v_mad_u64_u32 v[34:35], null, s21, v42, v[32:33]
	v_add_nc_u32_e32 v35, 0x561, v170
	v_add_co_u32 v66, s0, v22, v30
	s_delay_alu instid0(VALU_DEP_1) | instskip(SKIP_1) | instid1(VALU_DEP_4)
	v_add_co_ci_u32_e64 v67, s0, v23, v31, s0
	v_lshlrev_b64 v[30:31], 4, v[45:46]
	v_mad_u64_u32 v[45:46], null, s20, v35, 0
	v_mov_b32_e32 v32, v41
	s_delay_alu instid0(VALU_DEP_3) | instskip(NEXT) | instid1(VALU_DEP_2)
	v_add_co_u32 v68, s0, v22, v30
	v_mad_u64_u32 v[41:42], null, s21, v49, v[32:33]
	v_add_co_ci_u32_e64 v69, s0, v23, v31, s0
	v_lshlrev_b64 v[31:32], 4, v[33:34]
	v_mov_b32_e32 v30, v46
	v_add_nc_u32_e32 v42, 0x654, v170
	v_add_nc_u32_e32 v49, 0x747, v170
	s_delay_alu instid0(VALU_DEP_3) | instskip(NEXT) | instid1(VALU_DEP_3)
	v_mad_u64_u32 v[70:71], null, s21, v35, v[30:31]
	v_mad_u64_u32 v[33:34], null, s20, v42, 0
	v_add_co_u32 v120, s0, v22, v31
	v_lshlrev_b64 v[30:31], 4, v[40:41]
	v_mad_u64_u32 v[40:41], null, s20, v49, 0
	v_mov_b32_e32 v46, v70
	v_add_co_ci_u32_e64 v121, s0, v23, v32, s0
	v_mov_b32_e32 v32, v34
	v_add_co_u32 v122, s0, v22, v30
	s_delay_alu instid0(VALU_DEP_1)
	v_add_co_ci_u32_e64 v123, s0, v23, v31, s0
	v_lshlrev_b64 v[30:31], 4, v[45:46]
	v_mad_u64_u32 v[45:46], null, s20, v63, 0
	v_mad_u64_u32 v[34:35], null, s21, v42, v[32:33]
	;; [unrolled: 1-line block ×3, first 2 shown]
	v_mov_b32_e32 v32, v41
	v_add_co_u32 v124, s0, v22, v30
	s_delay_alu instid0(VALU_DEP_1) | instskip(NEXT) | instid1(VALU_DEP_3)
	v_add_co_ci_u32_e64 v125, s0, v23, v31, s0
	v_mad_u64_u32 v[41:42], null, s21, v49, v[32:33]
	v_dual_mov_b32 v32, v46 :: v_dual_mov_b32 v35, v71
	v_lshlrev_b64 v[30:31], 4, v[33:34]
	s_delay_alu instid0(VALU_DEP_2) | instskip(NEXT) | instid1(VALU_DEP_3)
	v_mad_u64_u32 v[12:13], null, s21, v63, v[32:33]
	v_mad_u64_u32 v[71:72], null, s21, v56, v[35:36]
	s_delay_alu instid0(VALU_DEP_3) | instskip(NEXT) | instid1(VALU_DEP_1)
	v_add_co_u32 v13, s0, v22, v30
	v_add_co_ci_u32_e64 v14, s0, v23, v31, s0
	v_lshlrev_b64 v[30:31], 4, v[40:41]
	v_mov_b32_e32 v46, v12
	v_lshlrev_b64 v[15:16], 4, v[70:71]
	s_delay_alu instid0(VALU_DEP_3) | instskip(NEXT) | instid1(VALU_DEP_1)
	v_add_co_u32 v17, s0, v22, v30
	v_add_co_ci_u32_e64 v18, s0, v23, v31, s0
	s_delay_alu instid0(VALU_DEP_4) | instskip(NEXT) | instid1(VALU_DEP_4)
	v_lshlrev_b64 v[30:31], 4, v[45:46]
	v_add_co_u32 v15, s0, v22, v15
	s_delay_alu instid0(VALU_DEP_1) | instskip(NEXT) | instid1(VALU_DEP_3)
	v_add_co_ci_u32_e64 v16, s0, v23, v16, s0
	v_add_co_u32 v126, s0, v22, v30
	s_delay_alu instid0(VALU_DEP_1)
	v_add_co_ci_u32_e64 v127, s0, v23, v31, s0
	s_clause 0x15
	global_load_b128 v[32:35], v[20:21], off
	global_load_b128 v[28:31], v[28:29], off
	global_load_b128 v[100:103], v[24:25], off
	global_load_b128 v[88:91], v[26:27], off
	global_load_b128 v[96:99], v[43:44], off
	global_load_b128 v[80:83], v[47:48], off
	global_load_b128 v[92:95], v[50:51], off
	global_load_b128 v[76:79], v[52:53], off
	global_load_b128 v[84:87], v[54:55], off
	global_load_b128 v[48:51], v[57:58], off
	global_load_b128 v[24:27], v[59:60], off
	global_load_b128 v[20:23], v[61:62], off
	global_load_b128 v[72:75], v[64:65], off
	global_load_b128 v[60:63], v[66:67], off
	global_load_b128 v[64:67], v[68:69], off
	global_load_b128 v[52:55], v[120:121], off
	global_load_b128 v[68:71], v[122:123], off
	global_load_b128 v[56:59], v[124:125], off
	global_load_b128 v[44:47], v[13:14], off
	global_load_b128 v[40:43], v[17:18], off
	global_load_b128 v[12:15], v[15:16], off
	global_load_b128 v[16:19], v[126:127], off
.LBB0_13:
	s_or_b32 exec_lo, exec_lo, s1
	v_add_f64 v[136:137], v[36:37], v[4:5]
	v_add_f64 v[138:139], v[38:39], v[6:7]
	s_waitcnt vmcnt(22)
	v_add_f64 v[150:151], v[106:107], v[114:115]
	v_add_f64 v[140:141], v[8:9], v[0:1]
	;; [unrolled: 1-line block ×3, first 2 shown]
	s_waitcnt vmcnt(17)
	v_add_f64 v[144:145], v[96:97], v[100:101]
	v_add_f64 v[146:147], v[98:99], v[102:103]
	;; [unrolled: 1-line block ×6, first 2 shown]
	v_add_f64 v[128:129], v[38:39], -v[34:35]
	v_add_f64 v[164:165], v[36:37], -v[116:117]
	v_add_f64 v[166:167], v[116:117], -v[36:37]
	v_add_f64 v[122:123], v[38:39], -v[118:119]
	v_add_f64 v[120:121], v[118:119], -v[38:39]
	v_add_f64 v[130:131], v[118:119], -v[110:111]
	v_add_f64 v[38:39], v[116:117], -v[108:109]
	v_add_f64 v[182:183], v[104:105], v[112:113]
	v_add_f64 v[196:197], v[8:9], -v[28:29]
	v_add_f64 v[184:185], v[28:29], v[8:9]
	v_add_f64 v[188:189], v[8:9], -v[112:113]
	v_add_f64 v[190:191], v[112:113], -v[8:9]
	s_waitcnt vmcnt(13)
	v_add_f64 v[192:193], v[84:85], v[92:93]
	s_waitcnt vmcnt(11)
	v_add_f64 v[194:195], v[24:25], v[96:97]
	s_mov_b32 s10, 0x134454ff
	s_mov_b32 s11, 0xbfee6f0e
	;; [unrolled: 1-line block ×4, first 2 shown]
	v_add_f64 v[158:159], v[32:33], v[36:37]
	v_add_f64 v[168:169], v[32:33], -v[108:109]
	v_add_f64 v[180:181], v[108:109], -v[32:33]
	;; [unrolled: 1-line block ×8, first 2 shown]
	v_add_f64 v[116:117], v[116:117], v[136:137]
	v_add_f64 v[118:119], v[118:119], v[138:139]
	v_fma_f64 v[150:151], v[150:151], -0.5, v[2:3]
	v_add_f64 v[136:137], v[112:113], v[140:141]
	v_add_f64 v[138:139], v[114:115], v[142:143]
	;; [unrolled: 1-line block ×4, first 2 shown]
	v_add_f64 v[112:113], v[112:113], -v[104:105]
	v_fma_f64 v[154:155], v[154:155], -0.5, v[2:3]
	v_add_f64 v[114:115], v[114:115], -v[106:107]
	v_add_f64 v[214:215], v[28:29], -v[104:105]
	;; [unrolled: 1-line block ×4, first 2 shown]
	v_fma_f64 v[160:161], v[160:161], -0.5, v[6:7]
	v_fma_f64 v[162:163], v[162:163], -0.5, v[6:7]
	s_mov_b32 s16, 0x4755a5e
	s_mov_b32 s17, 0xbfe2cf23
	;; [unrolled: 1-line block ×3, first 2 shown]
	v_fma_f64 v[182:183], v[182:183], -0.5, v[0:1]
	s_mov_b32 s4, s16
	v_fma_f64 v[184:185], v[184:185], -0.5, v[0:1]
	v_add_f64 v[148:149], v[80:81], v[88:89]
	v_add_f64 v[152:153], v[82:83], v[90:91]
	v_fma_f64 v[6:7], v[192:193], -0.5, v[100:101]
	v_fma_f64 v[0:1], v[194:195], -0.5, v[100:101]
	v_add_f64 v[144:145], v[86:87], v[94:95]
	v_add_f64 v[146:147], v[26:27], v[98:99]
	v_add_f64 v[200:201], v[48:49], v[76:77]
	s_waitcnt vmcnt(10)
	v_add_f64 v[202:203], v[20:21], v[80:81]
	v_add_f64 v[204:205], v[50:51], v[78:79]
	v_fma_f64 v[156:157], v[156:157], -0.5, v[4:5]
	v_fma_f64 v[158:159], v[158:159], -0.5, v[4:5]
	s_mov_b32 s14, 0x372fe950
	s_mov_b32 s15, 0x3fd3c6ef
	v_add_f64 v[198:199], v[218:219], v[198:199]
	s_waitcnt vmcnt(7)
	v_add_f64 v[206:207], v[64:65], v[72:73]
	v_add_f64 v[208:209], v[66:67], v[74:75]
	;; [unrolled: 1-line block ×5, first 2 shown]
	v_fma_f64 v[118:119], v[196:197], s[0:1], v[150:151]
	v_add_f64 v[110:111], v[104:105], v[136:137]
	s_waitcnt vmcnt(3)
	v_add_f64 v[194:195], v[44:45], v[68:69]
	v_add_f64 v[100:101], v[84:85], v[140:141]
	;; [unrolled: 1-line block ×3, first 2 shown]
	v_fma_f64 v[140:141], v[196:197], s[10:11], v[150:151]
	v_fma_f64 v[142:143], v[112:113], s[0:1], v[154:155]
	;; [unrolled: 1-line block ×3, first 2 shown]
	v_add_f64 v[226:227], v[52:53], v[60:61]
	v_add_f64 v[228:229], v[54:55], v[62:63]
	v_add_f64 v[212:213], v[220:221], v[212:213]
	s_waitcnt vmcnt(0)
	v_add_f64 v[218:219], v[16:17], v[52:53]
	v_add_f64 v[220:221], v[42:43], v[58:59]
	;; [unrolled: 1-line block ×5, first 2 shown]
	v_fma_f64 v[230:231], v[186:187], s[10:11], v[182:183]
	v_fma_f64 v[182:183], v[186:187], s[0:1], v[182:183]
	;; [unrolled: 1-line block ×4, first 2 shown]
	v_add_f64 v[148:149], v[76:77], v[148:149]
	v_add_f64 v[152:153], v[78:79], v[152:153]
	v_add_f64 v[36:37], v[36:37], -v[32:33]
	v_fma_f64 v[4:5], v[144:145], -0.5, v[102:103]
	v_fma_f64 v[102:103], v[146:147], -0.5, v[102:103]
	;; [unrolled: 1-line block ×5, first 2 shown]
	v_add_f64 v[200:201], v[12:13], v[64:65]
	v_add_f64 v[202:203], v[46:47], v[70:71]
	;; [unrolled: 1-line block ×3, first 2 shown]
	v_fma_f64 v[216:217], v[130:131], s[0:1], v[158:159]
	v_fma_f64 v[158:159], v[130:131], s[10:11], v[158:159]
	v_add_f64 v[154:155], v[68:69], v[206:207]
	v_add_f64 v[192:193], v[70:71], v[208:209]
	v_fma_f64 v[90:91], v[210:211], -0.5, v[90:91]
	v_add_f64 v[208:209], v[82:83], -v[22:23]
	v_add_f64 v[210:211], v[80:81], -v[76:77]
	v_fma_f64 v[118:119], v[112:113], s[4:5], v[118:119]
	v_add_f64 v[222:223], v[76:77], -v[80:81]
	v_add_f64 v[80:81], v[80:81], -v[20:21]
	;; [unrolled: 1-line block ×4, first 2 shown]
	v_fma_f64 v[112:113], v[112:113], s[16:17], v[140:141]
	v_fma_f64 v[140:141], v[196:197], s[16:17], v[142:143]
	;; [unrolled: 1-line block ×3, first 2 shown]
	v_add_f64 v[196:197], v[40:41], v[56:57]
	v_add_f64 v[78:79], v[78:79], -v[50:51]
	v_add_f64 v[76:77], v[76:77], -v[48:49]
	v_fma_f64 v[194:195], v[194:195], -0.5, v[72:73]
	v_add_f64 v[214:215], v[48:49], -v[20:21]
	v_add_f64 v[226:227], v[56:57], v[226:227]
	v_add_f64 v[228:229], v[58:59], v[228:229]
	;; [unrolled: 1-line block ×3, first 2 shown]
	v_fma_f64 v[230:231], v[114:115], s[16:17], v[230:231]
	v_fma_f64 v[114:115], v[114:115], s[4:5], v[182:183]
	;; [unrolled: 1-line block ×6, first 2 shown]
	v_add_f64 v[168:169], v[50:51], -v[22:23]
	v_add_f64 v[186:187], v[58:59], -v[42:43]
	v_add_f64 v[166:167], v[180:181], v[166:167]
	s_mov_b32 s18, 0x9b97f4a8
	s_mov_b32 s19, 0x3fe9e377
	v_add_f64 v[142:143], v[70:71], -v[46:47]
	v_fma_f64 v[72:73], v[200:201], -0.5, v[72:73]
	v_fma_f64 v[200:201], v[202:203], -0.5, v[74:75]
	;; [unrolled: 1-line block ×3, first 2 shown]
	v_add_f64 v[204:205], v[20:21], -v[48:49]
	v_add_f64 v[48:49], v[48:49], v[148:149]
	v_add_f64 v[236:237], v[64:65], -v[68:69]
	v_add_f64 v[238:239], v[68:69], -v[64:65]
	;; [unrolled: 1-line block ×4, first 2 shown]
	v_add_f64 v[122:123], v[126:127], v[122:123]
	v_fma_f64 v[118:119], v[198:199], s[14:15], v[118:119]
	v_add_f64 v[126:127], v[46:47], -v[14:15]
	v_add_f64 v[120:121], v[124:125], v[120:121]
	v_add_f64 v[124:125], v[16:17], -v[40:41]
	v_add_f64 v[32:33], v[32:33], v[116:117]
	v_fma_f64 v[112:113], v[198:199], s[14:15], v[112:113]
	v_fma_f64 v[140:141], v[212:213], s[14:15], v[140:141]
	v_fma_f64 v[136:137], v[212:213], s[14:15], v[136:137]
	v_add_f64 v[198:199], v[52:53], -v[56:57]
	v_add_f64 v[212:213], v[56:57], -v[52:53]
	v_fma_f64 v[196:197], v[196:197], -0.5, v[60:61]
	v_fma_f64 v[60:61], v[218:219], -0.5, v[60:61]
	;; [unrolled: 1-line block ×4, first 2 shown]
	v_add_f64 v[52:53], v[52:53], -v[16:17]
	v_add_f64 v[234:235], v[22:23], -v[50:51]
	v_add_f64 v[50:51], v[50:51], v[152:153]
	v_fma_f64 v[152:153], v[128:129], s[16:17], v[216:217]
	v_fma_f64 v[148:149], v[130:131], s[16:17], v[182:183]
	;; [unrolled: 1-line block ×3, first 2 shown]
	v_add_f64 v[56:57], v[56:57], -v[40:41]
	v_fma_f64 v[130:131], v[130:131], s[4:5], v[156:157]
	v_add_f64 v[220:221], v[54:55], -v[58:59]
	v_add_f64 v[58:59], v[58:59], -v[54:55]
	;; [unrolled: 1-line block ×3, first 2 shown]
	v_fma_f64 v[128:129], v[128:129], s[4:5], v[158:159]
	v_fma_f64 v[114:115], v[188:189], s[14:15], v[114:115]
	;; [unrolled: 1-line block ×4, first 2 shown]
	v_add_f64 v[156:157], v[44:45], -v[12:13]
	v_add_f64 v[158:159], v[14:15], -v[46:47]
	v_add_f64 v[204:205], v[204:205], v[210:211]
	v_add_f64 v[210:211], v[40:41], -v[16:17]
	v_add_f64 v[214:215], v[214:215], v[222:223]
	;; [unrolled: 2-line block ×3, first 2 shown]
	v_add_f64 v[46:47], v[46:47], v[192:193]
	v_add_f64 v[40:41], v[40:41], v[226:227]
	v_mul_f64 v[216:217], v[118:119], s[16:17]
	v_fma_f64 v[154:155], v[36:37], s[0:1], v[160:161]
	v_fma_f64 v[160:161], v[36:37], s[10:11], v[160:161]
	;; [unrolled: 1-line block ×4, first 2 shown]
	v_mul_f64 v[190:191], v[112:113], s[16:17]
	v_mul_f64 v[188:189], v[140:141], s[10:11]
	;; [unrolled: 1-line block ×3, first 2 shown]
	v_add_f64 v[28:29], v[28:29], v[110:111]
	v_fma_f64 v[150:151], v[80:81], s[10:11], v[150:151]
	v_add_f64 v[34:35], v[34:35], v[108:109]
	v_add_f64 v[82:83], v[168:169], v[82:83]
	s_mov_b32 s23, 0xbfd3c6ef
	s_mov_b32 s22, s14
	v_fma_f64 v[108:109], v[52:53], s[0:1], v[218:219]
	v_add_f64 v[224:225], v[234:235], v[224:225]
	v_add_f64 v[234:235], v[42:43], -v[18:19]
	v_add_f64 v[42:43], v[42:43], v[228:229]
	v_fma_f64 v[110:111], v[164:165], s[14:15], v[148:149]
	v_fma_f64 v[218:219], v[52:53], s[10:11], v[218:219]
	;; [unrolled: 1-line block ×4, first 2 shown]
	s_mov_b32 s21, 0xbfe9e377
	s_mov_b32 s20, s18
	v_fma_f64 v[130:131], v[164:165], s[14:15], v[130:131]
	v_fma_f64 v[164:165], v[208:209], s[10:11], v[146:147]
	v_add_f64 v[2:3], v[98:99], -v[26:27]
	v_add_f64 v[10:11], v[96:97], -v[92:93]
	;; [unrolled: 1-line block ×5, first 2 shown]
	v_fma_f64 v[148:149], v[166:167], s[14:15], v[152:153]
	v_fma_f64 v[128:129], v[166:167], s[14:15], v[128:129]
	;; [unrolled: 1-line block ×4, first 2 shown]
	v_add_f64 v[106:107], v[106:107], v[138:139]
	v_add_f64 v[138:139], v[98:99], -v[94:95]
	v_add_f64 v[98:99], v[94:95], -v[98:99]
	v_fma_f64 v[116:117], v[182:183], s[18:19], v[216:217]
	v_fma_f64 v[216:217], v[76:77], s[10:11], v[90:91]
	;; [unrolled: 1-line block ×3, first 2 shown]
	v_add_f64 v[94:95], v[94:95], -v[86:87]
	v_add_f64 v[92:93], v[92:93], -v[84:85]
	v_fma_f64 v[190:191], v[114:115], s[20:21], v[190:191]
	v_fma_f64 v[188:189], v[184:185], s[22:23], v[188:189]
	;; [unrolled: 1-line block ×4, first 2 shown]
	v_add_f64 v[84:85], v[84:85], -v[24:25]
	v_add_f64 v[202:203], v[66:67], -v[70:71]
	;; [unrolled: 1-line block ×5, first 2 shown]
	v_fma_f64 v[162:163], v[38:39], s[0:1], v[162:163]
	v_fma_f64 v[146:147], v[208:209], s[0:1], v[146:147]
	v_fma_f64 v[88:89], v[78:79], s[10:11], v[88:89]
	v_add_f64 v[240:241], v[20:21], v[48:49]
	v_add_f64 v[242:243], v[22:23], v[50:51]
	;; [unrolled: 1-line block ×6, first 2 shown]
	v_fma_f64 v[40:41], v[38:39], s[4:5], v[154:155]
	v_fma_f64 v[38:39], v[38:39], s[16:17], v[160:161]
	;; [unrolled: 1-line block ×3, first 2 shown]
	v_add_f64 v[12:13], v[28:29], v[32:33]
	v_add_f64 v[18:19], v[32:33], -v[28:29]
	v_fma_f64 v[32:33], v[76:77], s[4:5], v[226:227]
	v_fma_f64 v[76:77], v[76:77], s[16:17], v[150:151]
	;; [unrolled: 1-line block ×3, first 2 shown]
	v_add_f64 v[58:59], v[234:235], v[58:59]
	v_fma_f64 v[60:61], v[186:187], s[10:11], v[60:61]
	v_fma_f64 v[56:57], v[56:57], s[16:17], v[218:219]
	;; [unrolled: 1-line block ×3, first 2 shown]
	v_add_f64 v[206:207], v[26:27], -v[86:87]
	v_add_f64 v[86:87], v[86:87], -v[26:27]
	v_add_f64 v[104:105], v[26:27], v[104:105]
	v_add_f64 v[14:15], v[110:111], v[116:117]
	v_add_f64 v[20:21], v[110:111], -v[116:117]
	v_fma_f64 v[50:51], v[80:81], s[16:17], v[90:91]
	v_add_f64 v[110:111], v[222:223], v[220:221]
	v_fma_f64 v[46:47], v[80:81], s[4:5], v[216:217]
	v_fma_f64 v[116:117], v[52:53], s[4:5], v[168:169]
	;; [unrolled: 1-line block ×5, first 2 shown]
	v_add_f64 v[26:27], v[128:129], v[188:189]
	v_add_f64 v[28:29], v[128:129], -v[188:189]
	v_fma_f64 v[80:81], v[2:3], s[10:11], v[6:7]
	v_fma_f64 v[6:7], v[2:3], s[0:1], v[6:7]
	v_add_f64 v[90:91], v[124:125], v[198:199]
	v_fma_f64 v[128:129], v[186:187], s[16:17], v[228:229]
	v_add_f64 v[10:11], v[144:145], v[10:11]
	v_fma_f64 v[144:145], v[96:97], s[0:1], v[4:5]
	v_fma_f64 v[4:5], v[96:97], s[10:11], v[4:5]
	v_add_f64 v[106:107], v[30:31], v[106:107]
	v_add_f64 v[100:101], v[24:25], v[100:101]
	v_add_f64 v[22:23], v[148:149], -v[152:153]
	v_add_f64 v[24:25], v[148:149], v[152:153]
	v_add_f64 v[16:17], v[130:131], v[190:191]
	v_add_f64 v[30:31], v[130:131], -v[190:191]
	v_fma_f64 v[124:125], v[94:95], s[0:1], v[0:1]
	v_add_f64 v[130:131], v[210:211], v[212:213]
	v_fma_f64 v[148:149], v[54:55], s[16:17], v[232:233]
	v_fma_f64 v[0:1], v[94:95], s[10:11], v[0:1]
	;; [unrolled: 1-line block ×13, first 2 shown]
	v_add_f64 v[8:9], v[84:85], v[8:9]
	v_fma_f64 v[50:51], v[82:83], s[14:15], v[50:51]
	v_fma_f64 v[84:85], v[110:111], s[14:15], v[108:109]
	;; [unrolled: 1-line block ×11, first 2 shown]
	v_mul_f64 v[102:103], v[182:183], s[4:5]
	v_fma_f64 v[48:49], v[214:215], s[14:15], v[48:49]
	v_fma_f64 v[80:81], v[94:95], s[16:17], v[80:81]
	;; [unrolled: 1-line block ×7, first 2 shown]
	v_mul_f64 v[112:113], v[112:113], s[20:21]
	v_fma_f64 v[4:5], v[92:93], s[16:17], v[4:5]
	v_fma_f64 v[92:93], v[64:65], s[0:1], v[200:201]
	;; [unrolled: 1-line block ×3, first 2 shown]
	v_mul_f64 v[82:83], v[230:231], s[0:1]
	v_fma_f64 v[110:111], v[130:131], s[14:15], v[148:149]
	v_fma_f64 v[0:1], v[2:3], s[4:5], v[0:1]
	;; [unrolled: 1-line block ×3, first 2 shown]
	v_add_f64 v[148:149], v[180:181], v[236:237]
	v_fma_f64 v[40:41], v[96:97], s[4:5], v[40:41]
	v_add_f64 v[86:87], v[86:87], v[98:99]
	v_fma_f64 v[42:43], v[96:97], s[16:17], v[42:43]
	v_fma_f64 v[78:79], v[204:205], s[14:15], v[78:79]
	;; [unrolled: 1-line block ×4, first 2 shown]
	v_mul_f64 v[160:161], v[76:77], s[16:17]
	v_fma_f64 v[146:147], v[142:143], s[16:17], v[146:147]
	v_fma_f64 v[154:155], v[66:67], s[16:17], v[154:155]
	v_mul_f64 v[76:77], v[76:77], s[20:21]
	v_mul_f64 v[144:145], v[50:51], s[10:11]
	v_fma_f64 v[66:67], v[66:67], s[4:5], v[72:73]
	v_mul_f64 v[72:73], v[84:85], s[16:17]
	v_mul_f64 v[98:99], v[32:33], s[16:17]
	;; [unrolled: 1-line block ×3, first 2 shown]
	v_fma_f64 v[142:143], v[142:143], s[4:5], v[152:153]
	v_add_f64 v[152:153], v[156:157], v[238:239]
	v_add_f64 v[70:71], v[126:127], v[70:71]
	v_mul_f64 v[126:127], v[108:109], s[10:11]
	v_fma_f64 v[130:131], v[130:131], s[14:15], v[54:55]
	v_mul_f64 v[54:55], v[52:53], s[10:11]
	v_mul_f64 v[140:141], v[140:141], s[22:23]
	v_fma_f64 v[58:59], v[90:91], s[14:15], v[58:59]
	v_mul_f64 v[90:91], v[56:57], s[16:17]
	v_mul_f64 v[50:51], v[50:51], s[22:23]
	v_add_f64 v[2:3], v[206:207], v[138:139]
	v_mul_f64 v[124:125], v[44:45], s[4:5]
	v_mul_f64 v[138:139], v[48:49], s[0:1]
	v_fma_f64 v[94:95], v[64:65], s[4:5], v[94:95]
	v_fma_f64 v[60:61], v[64:65], s[16:17], v[60:61]
	v_mul_f64 v[64:65], v[74:75], s[4:5]
	v_fma_f64 v[102:103], v[118:119], s[18:19], v[102:103]
	v_fma_f64 v[112:113], v[114:115], s[4:5], v[112:113]
	;; [unrolled: 1-line block ×4, first 2 shown]
	v_add_f64 v[6:7], v[158:159], v[202:203]
	v_fma_f64 v[10:11], v[68:69], s[4:5], v[92:93]
	v_fma_f64 v[36:37], v[120:121], s[14:15], v[36:37]
	v_mul_f64 v[120:121], v[110:111], s[0:1]
	v_fma_f64 v[92:93], v[8:9], s[14:15], v[0:1]
	v_mul_f64 v[0:1], v[52:53], s[22:23]
	v_fma_f64 v[82:83], v[136:137], s[14:15], v[82:83]
	v_fma_f64 v[62:63], v[8:9], s[14:15], v[62:63]
	v_fma_f64 v[8:9], v[68:69], s[16:17], v[96:97]
	v_mul_f64 v[68:69], v[56:57], s[20:21]
	s_load_b64 s[2:3], s[2:3], 0x0
	v_lshl_add_u32 v192, v172, 3, 0
	v_fma_f64 v[156:157], v[78:79], s[4:5], v[76:77]
	v_fma_f64 v[136:137], v[88:89], s[22:23], v[144:145]
	;; [unrolled: 1-line block ×22, first 2 shown]
	v_add_f64 v[42:43], v[150:151], v[102:103]
	v_add_f64 v[44:45], v[150:151], -v[102:103]
	v_fma_f64 v[94:95], v[70:71], s[14:15], v[94:95]
	v_fma_f64 v[146:147], v[70:71], s[14:15], v[60:61]
	v_add_f64 v[64:65], v[248:249], v[244:245]
	v_fma_f64 v[150:151], v[6:7], s[14:15], v[10:11]
	v_add_f64 v[10:11], v[100:101], -v[240:241]
	v_fma_f64 v[148:149], v[108:109], s[14:15], v[120:121]
	v_add_f64 v[40:41], v[106:107], v[34:35]
	v_fma_f64 v[130:131], v[130:131], s[0:1], v[0:1]
	v_add_f64 v[54:55], v[34:35], -v[106:107]
	v_add_f64 v[52:53], v[38:39], v[112:113]
	v_fma_f64 v[152:153], v[6:7], s[14:15], v[8:9]
	v_fma_f64 v[154:155], v[58:59], s[4:5], v[68:69]
	v_add_f64 v[58:59], v[38:39], -v[112:113]
	v_add_f64 v[0:1], v[240:241], v[100:101]
	v_add_f64 v[46:47], v[122:123], -v[82:83]
	v_add_f64 v[48:49], v[122:123], v[82:83]
	v_add_f64 v[8:9], v[114:115], v[144:145]
	v_add_f64 v[38:39], v[114:115], -v[144:145]
	v_add_f64 v[66:67], v[76:77], v[72:73]
	v_add_f64 v[32:33], v[80:81], -v[98:99]
	v_add_f64 v[34:35], v[62:63], -v[128:129]
	;; [unrolled: 1-line block ×3, first 2 shown]
	v_add_f64 v[2:3], v[80:81], v[98:99]
	v_add_f64 v[70:71], v[74:75], -v[78:79]
	v_add_f64 v[72:73], v[74:75], v[78:79]
	v_add_f64 v[74:75], v[110:111], v[126:127]
	;; [unrolled: 1-line block ×3, first 2 shown]
	v_add_f64 v[56:57], v[36:37], -v[118:119]
	v_add_f64 v[36:37], v[92:93], -v[136:137]
	;; [unrolled: 1-line block ×3, first 2 shown]
	v_add_f64 v[76:77], v[142:143], v[90:91]
	v_add_f64 v[4:5], v[62:63], v[128:129]
	;; [unrolled: 1-line block ×3, first 2 shown]
	v_add_f64 v[80:81], v[110:111], -v[126:127]
	v_add_f64 v[82:83], v[142:143], -v[90:91]
	v_add_f64 v[102:103], v[86:87], v[88:89]
	v_add_f64 v[112:113], v[86:87], -v[88:89]
	v_mul_u32_u24_e32 v86, 10, v170
	v_add_f64 v[60:61], v[242:243], v[104:105]
	v_add_f64 v[62:63], v[96:97], v[124:125]
	v_add_f64 v[114:115], v[116:117], -v[156:157]
	v_add_f64 v[100:101], v[140:141], v[138:139]
	v_add_f64 v[118:119], v[250:251], v[246:247]
	;; [unrolled: 1-line block ×3, first 2 shown]
	v_add_f64 v[106:107], v[104:105], -v[242:243]
	v_add_f64 v[104:105], v[116:117], v[156:157]
	v_add_f64 v[108:109], v[96:97], -v[124:125]
	v_add_f64 v[122:123], v[94:95], v[148:149]
	v_add_f64 v[124:125], v[146:147], v[130:131]
	v_add_f64 v[110:111], v[140:141], -v[138:139]
	v_lshl_add_u32 v126, v86, 3, 0
	v_add_f64 v[140:141], v[150:151], -v[84:85]
	v_mul_i32_i24_e32 v84, 10, v174
	ds_store_b128 v126, v[12:15]
	ds_store_b128 v126, v[24:27] offset:16
	v_mul_i32_i24_e32 v12, 10, v177
	v_lshl_add_u32 v180, v84, 3, 0
	v_and_b32_e32 v117, 0xff, v170
	ds_store_b128 v126, v[16:19] offset:32
	ds_store_b128 v126, v[20:23] offset:48
	;; [unrolled: 1-line block ×3, first 2 shown]
	ds_store_b128 v180, v[0:3]
	ds_store_b128 v180, v[4:7] offset:16
	v_lshl_add_u32 v181, v12, 3, 0
	ds_store_b128 v180, v[8:11] offset:32
	ds_store_b128 v180, v[32:35] offset:48
	;; [unrolled: 1-line block ×3, first 2 shown]
	v_mad_i32_i24 v182, 0xffffffb8, v170, v126
	ds_store_b128 v181, v[64:67]
	ds_store_b128 v181, v[72:75] offset:16
	ds_store_b128 v181, v[76:79] offset:32
	;; [unrolled: 1-line block ×4, first 2 shown]
	v_mul_lo_u16 v64, 0xcd, v117
	v_add_f64 v[138:139], v[246:247], -v[250:251]
	v_add_f64 v[136:137], v[152:153], v[154:155]
	v_add_f64 v[142:143], v[94:95], -v[148:149]
	v_add_f64 v[144:145], v[146:147], -v[130:131]
	;; [unrolled: 1-line block ×3, first 2 shown]
	v_add_nc_u32_e32 v183, 0x1800, v182
	v_add_nc_u32_e32 v184, 0x3000, v182
	v_mad_i32_i24 v201, 0xffffffb8, v174, v180
	v_add_nc_u32_e32 v186, 0x3400, v182
	v_add_nc_u32_e32 v189, 0x2000, v182
	;; [unrolled: 1-line block ×4, first 2 shown]
	v_lshrrev_b16 v127, 11, v64
	v_and_b32_e32 v116, 0xff, v174
	v_mad_i32_i24 v200, 0xffffffb8, v177, v181
	v_add_nc_u32_e32 v190, 0x3800, v182
	v_lshl_add_u32 v187, v171, 3, 0
	v_lshl_add_u32 v194, v176, 3, 0
	v_add_nc_u32_e32 v185, 0x1c00, v182
	v_lshl_add_u32 v188, v175, 3, 0
	v_lshl_add_u32 v196, v179, 3, 0
	;; [unrolled: 1-line block ×4, first 2 shown]
	v_add_nc_u32_e32 v195, 0x4000, v182
	s_waitcnt lgkmcnt(0)
	s_barrier
	buffer_gl0_inv
	ds_load_2addr_b64 v[36:39], v183 offset0:42 offset1:123
	ds_load_2addr_b64 v[32:35], v184 offset0:84 offset1:165
	ds_load_b64 v[86:87], v201
	ds_load_b64 v[84:85], v200
	ds_load_2addr_b64 v[28:31], v185 offset0:76 offset1:157
	ds_load_2addr_b64 v[12:15], v186 offset0:118 offset1:199
	;; [unrolled: 1-line block ×4, first 2 shown]
	ds_load_b64 v[90:91], v182
	ds_load_b64 v[88:89], v187
	ds_load_b64 v[82:83], v188
	ds_load_b64 v[80:81], v191
	ds_load_2addr_b64 v[0:3], v193 offset0:16 offset1:97
	v_add_nc_u32_e32 v198, 0x2c00, v182
	ds_load_b64 v[98:99], v192
	ds_load_b64 v[96:97], v194
	;; [unrolled: 1-line block ×4, first 2 shown]
	ds_load_2addr_b64 v[24:27], v195 offset0:58 offset1:139
	ds_load_2addr_b64 v[16:19], v198 offset0:50 offset1:131
	;; [unrolled: 1-line block ×3, first 2 shown]
	s_waitcnt lgkmcnt(0)
	s_barrier
	buffer_gl0_inv
	ds_store_b128 v126, v[40:43]
	ds_store_b128 v126, v[48:51] offset:16
	v_mul_lo_u16 v40, v127, 10
	v_mul_lo_u16 v41, 0xcd, v116
	ds_store_b128 v126, v[52:55] offset:32
	ds_store_b128 v126, v[44:47] offset:48
	;; [unrolled: 1-line block ×3, first 2 shown]
	ds_store_b128 v180, v[60:63]
	ds_store_b128 v180, v[100:103] offset:16
	ds_store_b128 v180, v[104:107] offset:32
	;; [unrolled: 1-line block ×4, first 2 shown]
	ds_store_b128 v181, v[118:121]
	ds_store_b128 v181, v[122:125] offset:16
	v_sub_nc_u16 v40, v170, v40
	v_lshrrev_b16 v130, 11, v41
	v_and_b32_e32 v122, 0xff, v177
	ds_store_b128 v181, v[136:139] offset:32
	ds_store_b128 v181, v[140:143] offset:48
	;; [unrolled: 1-line block ×3, first 2 shown]
	s_waitcnt lgkmcnt(0)
	v_and_b32_e32 v118, 0xff, v40
	v_mul_lo_u16 v40, v130, 10
	s_barrier
	buffer_gl0_inv
	v_and_b32_e32 v121, 0xffff, v171
	v_lshlrev_b32_e32 v41, 5, v118
	v_sub_nc_u16 v40, v174, v40
	v_and_b32_e32 v120, 0xffff, v175
	v_and_b32_e32 v123, 0xffff, v178
	v_mul_u32_u24_e32 v43, 0xcccd, v121
	s_clause 0x1
	global_load_b128 v[102:105], v41, s[8:9]
	global_load_b128 v[110:113], v41, s[8:9] offset:16
	v_and_b32_e32 v119, 0xff, v40
	v_mul_lo_u16 v40, 0xcd, v122
	v_lshrrev_b32_e32 v126, 19, v43
	v_and_b32_e32 v203, 0xffff, v172
	v_and_b32_e32 v204, 0xffff, v176
	v_lshlrev_b32_e32 v42, 5, v119
	v_lshrrev_b16 v141, 11, v40
	v_and_b32_e32 v205, 0xffff, v179
	v_and_b32_e32 v202, 0xffff, v173
	v_mul_u32_u24_e32 v45, 0xcccd, v204
	s_clause 0x1
	global_load_b128 v[106:109], v42, s[8:9]
	global_load_b128 v[146:149], v42, s[8:9] offset:16
	v_mul_lo_u16 v40, v141, 10
	v_mul_u32_u24_e32 v42, 0xcccd, v120
	v_lshrrev_b32_e32 v137, 19, v45
	v_mul_u32_u24_e32 v45, 0xcccd, v205
	v_and_b32_e32 v127, 0xffff, v127
	v_sub_nc_u16 v40, v177, v40
	v_lshrrev_b32_e32 v129, 19, v42
	v_mul_u32_u24_e32 v42, 0xcccd, v123
	v_lshrrev_b32_e32 v139, 19, v45
	v_and_b32_e32 v130, 0xffff, v130
	v_and_b32_e32 v125, 0xff, v40
	v_mul_lo_u16 v40, v126, 10
	v_lshrrev_b32_e32 v128, 19, v42
	v_mul_u32_u24_e32 v42, 0xcccd, v203
	v_mul_u32_u24_e32 v130, 0xf0, v130
	v_lshlrev_b32_e32 v41, 5, v125
	v_sub_nc_u16 v40, v171, v40
	v_lshlrev_b32_e32 v118, 3, v118
	v_lshrrev_b32_e32 v131, 19, v42
	v_lshlrev_b32_e32 v119, 3, v119
	s_clause 0x1
	global_load_b128 v[150:153], v41, s[8:9]
	global_load_b128 v[158:161], v41, s[8:9] offset:16
	v_and_b32_e32 v124, 0xffff, v40
	v_mul_lo_u16 v41, v129, 10
	s_mov_b32 s4, 0xe8584caa
	s_mov_b32 s5, 0xbfebb67a
	v_add3_u32 v130, 0, v130, v119
	v_lshlrev_b32_e32 v40, 5, v124
	s_mov_b32 s11, 0x3febb67a
	s_mov_b32 s10, s4
	v_and_b32_e32 v141, 0xffff, v141
	v_mul_lo_u16 v117, 0x89, v117
	s_clause 0x1
	global_load_b128 v[154:157], v40, s[8:9]
	global_load_b128 v[162:165], v40, s[8:9] offset:16
	v_sub_nc_u16 v40, v175, v41
	v_mul_lo_u16 v41, v128, 10
	v_mul_u32_u24_e32 v141, 0xf0, v141
	v_cmp_gt_u32_e64 s0, 9, v170
	s_delay_alu instid0(VALU_DEP_4) | instskip(NEXT) | instid1(VALU_DEP_4)
	v_and_b32_e32 v140, 0xffff, v40
	v_sub_nc_u16 v40, v178, v41
	s_delay_alu instid0(VALU_DEP_2) | instskip(NEXT) | instid1(VALU_DEP_2)
	v_lshlrev_b32_e32 v41, 5, v140
	v_and_b32_e32 v136, 0xffff, v40
	v_mul_lo_u16 v40, v131, 10
	global_load_b128 v[166:169], v41, s[8:9]
	v_lshlrev_b32_e32 v44, 5, v136
	v_sub_nc_u16 v46, v172, v40
	s_clause 0x2
	global_load_b128 v[40:43], v41, s[8:9] offset:16
	global_load_b128 v[206:209], v44, s[8:9]
	global_load_b128 v[56:59], v44, s[8:9] offset:16
	v_and_b32_e32 v145, 0xffff, v46
	v_mul_u32_u24_e32 v46, 0xcccd, v202
	v_mul_lo_u16 v44, v137, 10
	s_delay_alu instid0(VALU_DEP_3)
	v_lshlrev_b32_e32 v45, 5, v145
	s_clause 0x1
	global_load_b128 v[64:67], v45, s[8:9]
	global_load_b128 v[60:63], v45, s[8:9] offset:16
	v_lshrrev_b32_e32 v138, 19, v46
	v_sub_nc_u16 v44, v176, v44
	v_mul_lo_u16 v46, v139, 10
	s_delay_alu instid0(VALU_DEP_3) | instskip(NEXT) | instid1(VALU_DEP_3)
	v_mul_lo_u16 v47, v138, 10
	v_and_b32_e32 v144, 0xffff, v44
	s_delay_alu instid0(VALU_DEP_3) | instskip(NEXT) | instid1(VALU_DEP_3)
	v_sub_nc_u16 v44, v179, v46
	v_sub_nc_u16 v45, v173, v47
	s_delay_alu instid0(VALU_DEP_3) | instskip(NEXT) | instid1(VALU_DEP_3)
	v_lshlrev_b32_e32 v48, 5, v144
	v_and_b32_e32 v143, 0xffff, v44
	s_delay_alu instid0(VALU_DEP_3)
	v_and_b32_e32 v142, 0xffff, v45
	global_load_b128 v[44:47], v48, s[8:9]
	v_lshlrev_b32_e32 v68, 5, v143
	global_load_b128 v[48:51], v48, s[8:9] offset:16
	v_lshlrev_b32_e32 v76, 5, v142
	s_clause 0x3
	global_load_b128 v[52:55], v68, s[8:9]
	global_load_b128 v[72:75], v68, s[8:9] offset:16
	global_load_b128 v[68:71], v76, s[8:9]
	global_load_b128 v[76:79], v76, s[8:9] offset:16
	ds_load_2addr_b64 v[210:213], v183 offset0:42 offset1:123
	ds_load_2addr_b64 v[214:217], v184 offset0:84 offset1:165
	;; [unrolled: 1-line block ×5, first 2 shown]
	s_waitcnt vmcnt(19) lgkmcnt(4)
	v_mul_f64 v[100:101], v[210:211], v[104:105]
	v_mul_f64 v[104:105], v[36:37], v[104:105]
	s_waitcnt vmcnt(18) lgkmcnt(3)
	v_mul_f64 v[230:231], v[214:215], v[112:113]
	v_mul_f64 v[232:233], v[32:33], v[112:113]
	s_waitcnt vmcnt(17)
	v_mul_f64 v[114:115], v[212:213], v[108:109]
	v_mul_f64 v[108:109], v[38:39], v[108:109]
	s_waitcnt vmcnt(16)
	v_mul_f64 v[234:235], v[216:217], v[148:149]
	v_mul_f64 v[148:149], v[34:35], v[148:149]
	s_waitcnt vmcnt(15) lgkmcnt(2)
	v_mul_f64 v[236:237], v[218:219], v[152:153]
	v_mul_f64 v[152:153], v[28:29], v[152:153]
	v_fma_f64 v[100:101], v[36:37], v[102:103], v[100:101]
	v_fma_f64 v[112:113], v[210:211], v[102:103], -v[104:105]
	v_fma_f64 v[102:103], v[32:33], v[110:111], v[230:231]
	v_fma_f64 v[104:105], v[214:215], v[110:111], -v[232:233]
	s_waitcnt vmcnt(13)
	v_mul_f64 v[238:239], v[220:221], v[156:157]
	v_fma_f64 v[36:37], v[38:39], v[106:107], v[114:115]
	v_fma_f64 v[38:39], v[212:213], v[106:107], -v[108:109]
	v_mul_f64 v[108:109], v[30:31], v[156:157]
	s_waitcnt lgkmcnt(1)
	v_mul_f64 v[114:115], v[222:223], v[160:161]
	v_mul_f64 v[156:157], v[12:13], v[160:161]
	s_waitcnt vmcnt(12)
	v_mul_f64 v[160:161], v[224:225], v[164:165]
	ds_load_2addr_b64 v[210:213], v190 offset0:152 offset1:233
	v_fma_f64 v[34:35], v[34:35], v[146:147], v[234:235]
	v_fma_f64 v[32:33], v[216:217], v[146:147], -v[148:149]
	ds_load_2addr_b64 v[146:149], v193 offset0:16 offset1:97
	ds_load_2addr_b64 v[214:217], v195 offset0:58 offset1:139
	v_mul_f64 v[164:165], v[14:15], v[164:165]
	s_waitcnt vmcnt(11) lgkmcnt(3)
	v_mul_f64 v[230:231], v[226:227], v[168:169]
	v_mul_f64 v[168:169], v[8:9], v[168:169]
	v_fma_f64 v[28:29], v[28:29], v[150:151], v[236:237]
	v_fma_f64 v[106:107], v[218:219], v[150:151], -v[152:153]
	s_waitcnt vmcnt(9)
	v_mul_f64 v[218:219], v[228:229], v[208:209]
	s_waitcnt lgkmcnt(2)
	v_mul_f64 v[232:233], v[210:211], v[42:43]
	s_waitcnt vmcnt(8)
	v_mul_f64 v[234:235], v[212:213], v[58:59]
	v_mul_f64 v[42:43], v[4:5], v[42:43]
	;; [unrolled: 1-line block ×3, first 2 shown]
	v_fma_f64 v[30:31], v[30:31], v[154:155], v[238:239]
	v_fma_f64 v[108:109], v[220:221], v[154:155], -v[108:109]
	v_fma_f64 v[110:111], v[12:13], v[158:159], v[114:115]
	v_fma_f64 v[12:13], v[222:223], v[158:159], -v[156:157]
	s_waitcnt vmcnt(7) lgkmcnt(1)
	v_mul_f64 v[158:159], v[146:147], v[66:67]
	s_waitcnt vmcnt(6) lgkmcnt(0)
	v_mul_f64 v[220:221], v[214:215], v[62:63]
	ds_load_2addr_b64 v[150:153], v198 offset0:50 offset1:131
	ds_load_2addr_b64 v[154:157], v199 offset0:92 offset1:173
	v_fma_f64 v[114:115], v[14:15], v[162:163], v[160:161]
	v_mul_f64 v[160:161], v[10:11], v[208:209]
	s_waitcnt vmcnt(5)
	v_mul_f64 v[208:209], v[148:149], v[46:47]
	v_fma_f64 v[14:15], v[224:225], v[162:163], -v[164:165]
	s_waitcnt vmcnt(4)
	v_mul_f64 v[162:163], v[216:217], v[50:51]
	v_fma_f64 v[8:9], v[8:9], v[166:167], v[230:231]
	v_fma_f64 v[166:167], v[226:227], v[166:167], -v[168:169]
	v_mul_f64 v[66:67], v[0:1], v[66:67]
	v_mul_f64 v[62:63], v[24:25], v[62:63]
	;; [unrolled: 1-line block ×4, first 2 shown]
	v_fma_f64 v[10:11], v[10:11], v[206:207], v[218:219]
	v_add_f64 v[218:219], v[100:101], v[102:103]
	s_waitcnt vmcnt(3) lgkmcnt(1)
	v_mul_f64 v[164:165], v[150:151], v[54:55]
	s_waitcnt vmcnt(2) lgkmcnt(0)
	v_mul_f64 v[222:223], v[154:155], v[74:75]
	s_waitcnt vmcnt(1)
	v_mul_f64 v[224:225], v[152:153], v[70:71]
	s_waitcnt vmcnt(0)
	v_mul_f64 v[168:169], v[156:157], v[78:79]
	v_fma_f64 v[4:5], v[4:5], v[40:41], v[232:233]
	v_fma_f64 v[6:7], v[6:7], v[56:57], v[234:235]
	v_mul_f64 v[54:55], v[16:17], v[54:55]
	v_mul_f64 v[70:71], v[18:19], v[70:71]
	;; [unrolled: 1-line block ×4, first 2 shown]
	v_fma_f64 v[40:41], v[210:211], v[40:41], -v[42:43]
	v_fma_f64 v[42:43], v[212:213], v[56:57], -v[58:59]
	v_fma_f64 v[0:1], v[0:1], v[64:65], v[158:159]
	v_fma_f64 v[24:25], v[24:25], v[60:61], v[220:221]
	v_add_f64 v[220:221], v[30:31], v[114:115]
	v_fma_f64 v[158:159], v[228:229], v[206:207], -v[160:161]
	v_add_f64 v[160:161], v[36:37], v[34:35]
	v_add_f64 v[206:207], v[28:29], v[110:111]
	v_fma_f64 v[2:3], v[2:3], v[44:45], v[208:209]
	v_fma_f64 v[26:27], v[26:27], v[48:49], v[162:163]
	v_mul_u32_u24_e32 v208, 0xf0, v127
	v_fma_f64 v[56:57], v[146:147], v[64:65], -v[66:67]
	v_fma_f64 v[60:61], v[214:215], v[60:61], -v[62:63]
	v_add_f64 v[62:63], v[90:91], v[100:101]
	v_add_f64 v[66:67], v[112:113], -v[104:105]
	v_add_f64 v[162:163], v[84:85], v[28:29]
	v_fma_f64 v[44:45], v[148:149], v[44:45], -v[46:47]
	v_fma_f64 v[46:47], v[216:217], v[48:49], -v[50:51]
	v_add_f64 v[28:29], v[28:29], -v[110:111]
	v_fma_f64 v[90:91], v[218:219], -0.5, v[90:91]
	v_fma_f64 v[16:17], v[16:17], v[52:53], v[164:165]
	v_fma_f64 v[20:21], v[20:21], v[72:73], v[222:223]
	;; [unrolled: 1-line block ×4, first 2 shown]
	v_add_f64 v[58:59], v[8:9], v[4:5]
	v_add_f64 v[64:65], v[10:11], v[6:7]
	v_mul_u32_u24_e32 v222, 0xf0, v126
	v_add_f64 v[126:127], v[86:87], v[36:37]
	v_add_f64 v[164:165], v[38:39], -v[32:33]
	v_add_f64 v[168:169], v[88:89], v[30:31]
	v_fma_f64 v[50:51], v[150:151], v[52:53], -v[54:55]
	v_fma_f64 v[52:53], v[154:155], v[72:73], -v[74:75]
	v_fma_f64 v[68:69], v[152:153], v[68:69], -v[70:71]
	v_fma_f64 v[70:71], v[156:157], v[76:77], -v[78:79]
	v_add3_u32 v225, 0, v208, v118
	v_add_f64 v[78:79], v[82:83], v[8:9]
	v_add_f64 v[118:119], v[166:167], -v[40:41]
	v_lshlrev_b32_e32 v223, 3, v125
	v_add_f64 v[146:147], v[0:1], v[24:25]
	v_lshlrev_b32_e32 v224, 3, v124
	v_fma_f64 v[88:89], v[220:221], -0.5, v[88:89]
	v_add_f64 v[148:149], v[158:159], -v[42:43]
	v_fma_f64 v[86:87], v[160:161], -0.5, v[86:87]
	v_add_f64 v[160:161], v[106:107], -v[12:13]
	v_fma_f64 v[84:85], v[206:207], -0.5, v[84:85]
	v_add_f64 v[48:49], v[2:3], v[26:27]
	v_add_f64 v[206:207], v[108:109], -v[14:15]
	v_add_f64 v[124:125], v[80:81], v[10:11]
	v_add_f64 v[150:151], v[56:57], -v[60:61]
	v_add_f64 v[62:63], v[62:63], v[102:103]
	v_add_f64 v[208:209], v[96:97], v[2:3]
	ds_load_b64 v[74:75], v201
	ds_load_b64 v[76:77], v200
	v_add3_u32 v141, 0, v141, v223
	v_add_f64 v[210:211], v[44:45], -v[46:47]
	v_add_f64 v[30:31], v[30:31], -v[114:115]
	;; [unrolled: 1-line block ×3, first 2 shown]
	v_add_f64 v[54:55], v[16:17], v[20:21]
	v_add_f64 v[72:73], v[18:19], v[22:23]
	v_fma_f64 v[58:59], v[58:59], -0.5, v[82:83]
	v_fma_f64 v[64:65], v[64:65], -0.5, v[80:81]
	v_add_f64 v[82:83], v[98:99], v[0:1]
	v_fma_f64 v[80:81], v[66:67], s[4:5], v[90:91]
	v_fma_f64 v[66:67], v[66:67], s[10:11], v[90:91]
	v_add_f64 v[126:127], v[126:127], v[34:35]
	v_add_f64 v[152:153], v[168:169], v[114:115]
	v_add_f64 v[212:213], v[50:51], -v[52:53]
	v_add_f64 v[34:35], v[36:37], -v[34:35]
	;; [unrolled: 1-line block ×3, first 2 shown]
	s_waitcnt lgkmcnt(0)
	v_add_f64 v[36:37], v[76:77], v[106:107]
	v_add_f64 v[78:79], v[78:79], v[4:5]
	v_add_f64 v[4:5], v[8:9], -v[4:5]
	v_add_f64 v[0:1], v[0:1], -v[24:25]
	v_fma_f64 v[98:99], v[146:147], -0.5, v[98:99]
	v_add_f64 v[146:147], v[162:163], v[110:111]
	v_fma_f64 v[90:91], v[164:165], s[4:5], v[86:87]
	v_fma_f64 v[86:87], v[164:165], s[10:11], v[86:87]
	;; [unrolled: 1-line block ×3, first 2 shown]
	v_fma_f64 v[48:49], v[48:49], -0.5, v[96:97]
	v_fma_f64 v[84:85], v[160:161], s[10:11], v[84:85]
	v_fma_f64 v[156:157], v[206:207], s[4:5], v[88:89]
	v_add_f64 v[96:97], v[94:95], v[16:17]
	v_fma_f64 v[88:89], v[206:207], s[10:11], v[88:89]
	ds_load_b64 v[160:161], v182
	ds_load_b64 v[162:163], v187
	;; [unrolled: 1-line block ×4, first 2 shown]
	v_add_f64 v[124:125], v[124:125], v[6:7]
	v_add_f64 v[6:7], v[10:11], -v[6:7]
	v_add_f64 v[16:17], v[16:17], -v[20:21]
	v_fma_f64 v[54:55], v[54:55], -0.5, v[94:95]
	v_add_f64 v[94:95], v[92:93], v[18:19]
	v_fma_f64 v[72:73], v[72:73], -0.5, v[92:93]
	v_fma_f64 v[206:207], v[118:119], s[4:5], v[58:59]
	v_fma_f64 v[58:59], v[118:119], s[10:11], v[58:59]
	;; [unrolled: 1-line block ×4, first 2 shown]
	ds_load_b64 v[92:93], v192
	ds_load_b64 v[216:217], v194
	;; [unrolled: 1-line block ×4, first 2 shown]
	s_waitcnt lgkmcnt(0)
	s_barrier
	buffer_gl0_inv
	ds_store_2addr_b64 v225, v[62:63], v[80:81] offset1:10
	v_add_f64 v[62:63], v[82:83], v[24:25]
	ds_store_b64 v225, v[66:67] offset:160
	ds_store_2addr_b64 v130, v[126:127], v[90:91] offset1:10
	ds_store_b64 v130, v[86:87] offset:160
	v_fma_f64 v[80:81], v[150:151], s[4:5], v[98:99]
	v_fma_f64 v[66:67], v[150:151], s[10:11], v[98:99]
	v_mul_u32_u24_e32 v82, 0xf0, v129
	v_lshlrev_b32_e32 v83, 3, v140
	v_add3_u32 v148, 0, v222, v224
	ds_store_2addr_b64 v141, v[146:147], v[154:155] offset1:10
	ds_store_b64 v141, v[84:85] offset:160
	ds_store_2addr_b64 v148, v[152:153], v[156:157] offset1:10
	v_add3_u32 v129, 0, v82, v83
	v_mul_u32_u24_e32 v126, 0xf0, v128
	v_add_f64 v[82:83], v[208:209], v[26:27]
	v_fma_f64 v[84:85], v[210:211], s[4:5], v[48:49]
	v_add_f64 v[98:99], v[112:113], v[104:105]
	v_lshlrev_b32_e32 v127, 3, v136
	v_fma_f64 v[48:49], v[210:211], s[10:11], v[48:49]
	v_mul_u32_u24_e32 v128, 0xf0, v131
	v_lshlrev_b32_e32 v131, 3, v145
	v_add_f64 v[86:87], v[96:97], v[20:21]
	v_fma_f64 v[90:91], v[212:213], s[4:5], v[54:55]
	v_fma_f64 v[96:97], v[214:215], s[4:5], v[72:73]
	;; [unrolled: 1-line block ×3, first 2 shown]
	ds_store_b64 v148, v[88:89] offset:160
	v_add_f64 v[88:89], v[38:39], v[32:33]
	v_fma_f64 v[54:55], v[212:213], s[10:11], v[54:55]
	v_add_f64 v[94:95], v[94:95], v[22:23]
	v_add3_u32 v136, 0, v126, v127
	v_add3_u32 v128, 0, v128, v131
	ds_store_2addr_b64 v129, v[78:79], v[206:207] offset1:10
	ds_store_b64 v129, v[58:59] offset:160
	ds_store_2addr_b64 v136, v[124:125], v[118:119] offset1:10
	v_add_f64 v[58:59], v[108:109], v[14:15]
	ds_store_b64 v136, v[64:65] offset:160
	ds_store_2addr_b64 v128, v[62:63], v[80:81] offset1:10
	v_add_f64 v[64:65], v[158:159], v[42:43]
	v_add_f64 v[78:79], v[106:107], v[12:13]
	;; [unrolled: 1-line block ×5, first 2 shown]
	v_mul_u32_u24_e32 v124, 0xf0, v137
	v_lshlrev_b32_e32 v125, 3, v144
	ds_store_b64 v128, v[66:67] offset:160
	v_add_f64 v[66:67], v[50:51], v[52:53]
	v_mul_u32_u24_e32 v131, 0xf0, v138
	v_mul_u32_u24_e32 v126, 0xf0, v139
	v_add3_u32 v138, 0, v124, v125
	v_add_f64 v[124:125], v[68:69], v[70:71]
	v_lshlrev_b32_e32 v127, 3, v143
	v_lshlrev_b32_e32 v137, 3, v142
	v_add_f64 v[112:113], v[160:161], v[112:113]
	v_add_f64 v[38:39], v[74:75], v[38:39]
	;; [unrolled: 1-line block ×3, first 2 shown]
	v_add3_u32 v139, 0, v126, v127
	v_add3_u32 v131, 0, v131, v137
	ds_store_2addr_b64 v138, v[82:83], v[84:85] offset1:10
	ds_store_b64 v138, v[48:49] offset:160
	ds_store_2addr_b64 v139, v[86:87], v[90:91] offset1:10
	ds_store_b64 v139, v[54:55] offset:160
	ds_store_2addr_b64 v131, v[94:95], v[96:97] offset1:10
	v_fma_f64 v[48:49], v[98:99], -0.5, v[160:161]
	v_add_f64 v[54:55], v[100:101], -v[102:103]
	ds_store_b64 v131, v[72:73] offset:160
	v_fma_f64 v[72:73], v[88:89], -0.5, v[74:75]
	v_add_f64 v[10:11], v[92:93], v[56:57]
	v_add_f64 v[24:25], v[216:217], v[44:45]
	;; [unrolled: 1-line block ×4, first 2 shown]
	v_fma_f64 v[58:59], v[58:59], -0.5, v[162:163]
	v_add_f64 v[18:19], v[18:19], -v[22:23]
	v_add_f64 v[84:85], v[36:37], v[12:13]
	s_waitcnt lgkmcnt(0)
	s_barrier
	buffer_gl0_inv
	v_fma_f64 v[64:65], v[64:65], -0.5, v[168:169]
	v_fma_f64 v[74:75], v[78:79], -0.5, v[76:77]
	v_add_f64 v[78:79], v[164:165], v[166:167]
	v_fma_f64 v[62:63], v[62:63], -0.5, v[164:165]
	v_add_f64 v[76:77], v[162:163], v[108:109]
	v_fma_f64 v[56:57], v[80:81], -0.5, v[92:93]
	v_fma_f64 v[44:45], v[118:119], -0.5, v[216:217]
	;; [unrolled: 1-line block ×4, first 2 shown]
	v_lshrrev_b16 v124, 12, v117
	v_add_f64 v[82:83], v[112:113], v[104:105]
	ds_load_b64 v[104:105], v201
	ds_load_b64 v[100:101], v200
	;; [unrolled: 1-line block ×10, first 2 shown]
	v_add_f64 v[42:43], v[8:9], v[42:43]
	v_fma_f64 v[68:69], v[54:55], s[10:11], v[48:49]
	v_fma_f64 v[48:49], v[54:55], s[4:5], v[48:49]
	v_add_f64 v[54:55], v[38:39], v[32:33]
	v_fma_f64 v[80:81], v[34:35], s[10:11], v[72:73]
	v_fma_f64 v[72:73], v[34:35], s[4:5], v[72:73]
	v_add_f64 v[60:61], v[10:11], v[60:61]
	v_add_f64 v[46:47], v[24:25], v[46:47]
	v_fma_f64 v[108:109], v[30:31], s[10:11], v[58:59]
	v_fma_f64 v[58:59], v[30:31], s[4:5], v[58:59]
	v_add_f64 v[52:53], v[26:27], v[52:53]
	v_add_f64 v[70:71], v[20:21], v[70:71]
	ds_load_2addr_b64 v[36:39], v183 offset0:42 offset1:123
	v_fma_f64 v[110:111], v[6:7], s[10:11], v[64:65]
	v_fma_f64 v[86:87], v[28:29], s[10:11], v[74:75]
	v_add_f64 v[40:41], v[78:79], v[40:41]
	v_fma_f64 v[78:79], v[4:5], s[10:11], v[62:63]
	v_fma_f64 v[74:75], v[28:29], s[4:5], v[74:75]
	;; [unrolled: 1-line block ×3, first 2 shown]
	v_add_f64 v[76:77], v[76:77], v[14:15]
	v_fma_f64 v[64:65], v[6:7], s[4:5], v[64:65]
	v_fma_f64 v[112:113], v[0:1], s[10:11], v[56:57]
	;; [unrolled: 1-line block ×9, first 2 shown]
	ds_load_2addr_b64 v[32:35], v184 offset0:84 offset1:165
	ds_load_2addr_b64 v[28:31], v185 offset0:76 offset1:157
	;; [unrolled: 1-line block ×9, first 2 shown]
	s_waitcnt lgkmcnt(0)
	s_barrier
	buffer_gl0_inv
	ds_store_2addr_b64 v225, v[82:83], v[68:69] offset1:10
	ds_store_b64 v225, v[48:49] offset:160
	ds_store_2addr_b64 v130, v[54:55], v[80:81] offset1:10
	v_mul_lo_u16 v48, 0x89, v116
	v_mul_lo_u16 v49, v124, 30
	ds_store_b64 v130, v[72:73] offset:160
	ds_store_2addr_b64 v141, v[84:85], v[86:87] offset1:10
	ds_store_b64 v141, v[74:75] offset:160
	ds_store_2addr_b64 v148, v[76:77], v[108:109] offset1:10
	v_lshrrev_b16 v125, 12, v48
	ds_store_b64 v148, v[58:59] offset:160
	ds_store_2addr_b64 v129, v[40:41], v[78:79] offset1:10
	ds_store_b64 v129, v[62:63] offset:160
	ds_store_2addr_b64 v136, v[42:43], v[110:111] offset1:10
	v_sub_nc_u16 v40, v170, v49
	v_mul_lo_u16 v42, 0x89, v122
	v_mul_lo_u16 v41, v125, 30
	ds_store_b64 v136, v[64:65] offset:160
	ds_store_2addr_b64 v128, v[60:61], v[112:113] offset1:10
	ds_store_b64 v128, v[56:57] offset:160
	ds_store_2addr_b64 v138, v[46:47], v[114:115] offset1:10
	v_and_b32_e32 v128, 0xff, v40
	v_mul_u32_u24_e32 v43, 0x8889, v121
	v_sub_nc_u16 v40, v174, v41
	v_lshrrev_b16 v130, 12, v42
	ds_store_b64 v138, v[44:45] offset:160
	ds_store_2addr_b64 v139, v[52:53], v[118:119] offset1:10
	ds_store_b64 v139, v[50:51] offset:160
	ds_store_2addr_b64 v131, v[70:71], v[126:127] offset1:10
	v_lshlrev_b32_e32 v41, 5, v128
	v_and_b32_e32 v127, 0xff, v40
	v_lshrrev_b32_e32 v129, 20, v43
	v_mul_lo_u16 v42, v130, 30
	ds_store_b64 v131, v[66:67] offset:160
	s_waitcnt lgkmcnt(0)
	s_barrier
	buffer_gl0_inv
	v_lshlrev_b32_e32 v40, 5, v127
	s_clause 0x1
	global_load_b128 v[108:111], v41, s[8:9] offset:320
	global_load_b128 v[140:143], v41, s[8:9] offset:336
	v_mul_lo_u16 v41, v129, 30
	v_sub_nc_u16 v42, v177, v42
	s_clause 0x1
	global_load_b128 v[116:119], v40, s[8:9] offset:320
	global_load_b128 v[144:147], v40, s[8:9] offset:336
	v_mul_u32_u24_e32 v43, 0x8889, v123
	v_sub_nc_u16 v40, v171, v41
	v_and_b32_e32 v131, 0xff, v42
	v_mul_u32_u24_e32 v42, 0x8889, v120
	v_mul_u32_u24_e32 v80, 0x8889, v205
	v_lshrrev_b32_e32 v136, 20, v43
	v_and_b32_e32 v126, 0xffff, v40
	v_lshlrev_b32_e32 v40, 5, v131
	v_lshrrev_b32_e32 v137, 20, v42
	v_mul_u32_u24_e32 v42, 0x8889, v203
	v_mul_u32_u24_e32 v43, 0x8889, v204
	v_lshlrev_b32_e32 v41, 5, v126
	s_clause 0x1
	global_load_b128 v[148:151], v40, s[8:9] offset:320
	global_load_b128 v[72:75], v40, s[8:9] offset:336
	v_mul_lo_u16 v44, v137, 30
	v_lshrrev_b32_e32 v139, 20, v42
	v_mul_lo_u16 v45, v136, 30
	v_lshrrev_b32_e32 v138, 20, v43
	s_clause 0x1
	global_load_b128 v[152:155], v41, s[8:9] offset:320
	global_load_b128 v[76:79], v41, s[8:9] offset:336
	v_sub_nc_u16 v42, v175, v44
	v_mul_lo_u16 v44, v139, 30
	v_sub_nc_u16 v43, v178, v45
	v_mul_lo_u16 v45, v138, 30
	v_lshrrev_b32_e32 v240, 20, v80
	v_and_b32_e32 v236, 0xffff, v42
	v_sub_nc_u16 v40, v172, v44
	v_and_b32_e32 v237, 0xffff, v43
	v_sub_nc_u16 v42, v176, v45
	v_mul_u32_u24_e32 v80, 0x8889, v202
	v_lshlrev_b32_e32 v43, 5, v236
	v_and_b32_e32 v238, 0xffff, v40
	v_lshlrev_b32_e32 v52, 5, v237
	v_and_b32_e32 v239, 0xffff, v42
	v_mul_lo_u16 v81, v240, 30
	s_clause 0x2
	global_load_b128 v[44:47], v43, s[8:9] offset:320
	global_load_b128 v[48:51], v52, s[8:9] offset:320
	;; [unrolled: 1-line block ×3, first 2 shown]
	v_lshlrev_b32_e32 v64, 5, v238
	v_lshlrev_b32_e32 v68, 5, v239
	s_clause 0x4
	global_load_b128 v[52:55], v52, s[8:9] offset:336
	global_load_b128 v[56:59], v64, s[8:9] offset:320
	;; [unrolled: 1-line block ×5, first 2 shown]
	v_lshrrev_b32_e32 v241, 20, v80
	v_sub_nc_u16 v80, v179, v81
	s_delay_alu instid0(VALU_DEP_2) | instskip(NEXT) | instid1(VALU_DEP_2)
	v_mul_lo_u16 v81, v241, 30
	v_and_b32_e32 v242, 0xffff, v80
	s_delay_alu instid0(VALU_DEP_2) | instskip(NEXT) | instid1(VALU_DEP_2)
	v_sub_nc_u16 v80, v173, v81
	v_lshlrev_b32_e32 v112, 5, v242
	s_delay_alu instid0(VALU_DEP_2)
	v_and_b32_e32 v243, 0xffff, v80
	global_load_b128 v[80:83], v112, s[8:9] offset:320
	v_lshlrev_b32_e32 v113, 5, v243
	s_clause 0x2
	global_load_b128 v[84:87], v113, s[8:9] offset:320
	global_load_b128 v[156:159], v112, s[8:9] offset:336
	;; [unrolled: 1-line block ×3, first 2 shown]
	ds_load_2addr_b64 v[164:167], v183 offset0:42 offset1:123
	ds_load_2addr_b64 v[206:209], v184 offset0:84 offset1:165
	;; [unrolled: 1-line block ×6, first 2 shown]
	s_waitcnt vmcnt(19) lgkmcnt(5)
	v_mul_f64 v[112:113], v[164:165], v[110:111]
	v_mul_f64 v[110:111], v[36:37], v[110:111]
	s_waitcnt vmcnt(18) lgkmcnt(4)
	v_mul_f64 v[226:227], v[206:207], v[142:143]
	v_mul_f64 v[142:143], v[32:33], v[142:143]
	s_waitcnt vmcnt(17)
	v_mul_f64 v[168:169], v[166:167], v[118:119]
	v_mul_f64 v[118:119], v[38:39], v[118:119]
	s_waitcnt vmcnt(16)
	v_mul_f64 v[228:229], v[208:209], v[146:147]
	v_mul_f64 v[146:147], v[34:35], v[146:147]
	s_waitcnt vmcnt(15) lgkmcnt(3)
	v_mul_f64 v[230:231], v[210:211], v[150:151]
	v_mul_f64 v[150:151], v[28:29], v[150:151]
	s_waitcnt vmcnt(13)
	v_mul_f64 v[232:233], v[212:213], v[154:155]
	v_mul_f64 v[154:155], v[30:31], v[154:155]
	v_fma_f64 v[114:115], v[36:37], v[108:109], v[112:113]
	v_fma_f64 v[110:111], v[164:165], v[108:109], -v[110:111]
	v_fma_f64 v[108:109], v[32:33], v[140:141], v[226:227]
	v_fma_f64 v[36:37], v[206:207], v[140:141], -v[142:143]
	;; [unrolled: 2-line block ×3, first 2 shown]
	ds_load_2addr_b64 v[140:143], v195 offset0:58 offset1:139
	v_fma_f64 v[34:35], v[34:35], v[144:145], v[228:229]
	s_waitcnt lgkmcnt(3)
	v_mul_f64 v[168:169], v[214:215], v[74:75]
	v_fma_f64 v[32:33], v[208:209], v[144:145], -v[146:147]
	s_waitcnt vmcnt(11) lgkmcnt(2)
	v_mul_f64 v[208:209], v[218:219], v[46:47]
	ds_load_2addr_b64 v[144:147], v198 offset0:50 offset1:131
	ds_load_2addr_b64 v[164:167], v190 offset0:152 offset1:233
	s_waitcnt vmcnt(10)
	v_mul_f64 v[226:227], v[220:221], v[50:51]
	v_mul_f64 v[74:75], v[24:25], v[74:75]
	v_mul_f64 v[206:207], v[216:217], v[78:79]
	v_mul_f64 v[78:79], v[26:27], v[78:79]
	v_fma_f64 v[116:117], v[28:29], v[148:149], v[230:231]
	v_fma_f64 v[28:29], v[210:211], v[148:149], -v[150:151]
	s_waitcnt vmcnt(7) lgkmcnt(3)
	v_mul_f64 v[148:149], v[222:223], v[58:59]
	s_waitcnt vmcnt(6)
	v_mul_f64 v[150:151], v[224:225], v[62:63]
	v_fma_f64 v[118:119], v[30:31], v[152:153], v[232:233]
	v_fma_f64 v[30:31], v[212:213], v[152:153], -v[154:155]
	s_waitcnt vmcnt(5) lgkmcnt(2)
	v_mul_f64 v[210:211], v[140:141], v[66:67]
	s_waitcnt vmcnt(4)
	v_mul_f64 v[230:231], v[142:143], v[70:71]
	v_mul_f64 v[154:155], v[22:23], v[50:51]
	;; [unrolled: 1-line block ×4, first 2 shown]
	s_waitcnt vmcnt(3) lgkmcnt(1)
	v_mul_f64 v[50:51], v[144:145], v[82:83]
	s_waitcnt lgkmcnt(0)
	v_mul_f64 v[228:229], v[164:165], v[42:43]
	v_mul_f64 v[66:67], v[8:9], v[66:67]
	;; [unrolled: 1-line block ×5, first 2 shown]
	v_mul_u32_u24_e32 v63, 0x2d0, v241
	v_lshlrev_b32_e32 v62, 3, v242
	v_lshlrev_b32_e32 v232, 1, v174
	v_fma_f64 v[24:25], v[24:25], v[72:73], v[168:169]
	v_mul_f64 v[168:169], v[16:17], v[42:43]
	v_fma_f64 v[46:47], v[20:21], v[44:45], v[208:209]
	v_mul_f64 v[208:209], v[12:13], v[58:59]
	v_lshlrev_b32_e32 v58, 3, v126
	v_fma_f64 v[22:23], v[22:23], v[48:49], v[226:227]
	v_fma_f64 v[72:73], v[214:215], v[72:73], -v[74:75]
	v_fma_f64 v[26:27], v[26:27], v[76:77], v[206:207]
	v_mul_f64 v[206:207], v[18:19], v[54:55]
	v_lshlrev_b32_e32 v54, 3, v127
	v_lshlrev_b32_e32 v55, 3, v131
	v_fma_f64 v[76:77], v[216:217], v[76:77], -v[78:79]
	v_fma_f64 v[42:43], v[12:13], v[56:57], v[148:149]
	v_fma_f64 v[12:13], v[14:15], v[60:61], v[150:151]
	ds_load_2addr_b64 v[148:151], v199 offset0:92 offset1:173
	v_fma_f64 v[20:21], v[8:9], v[64:65], v[210:211]
	v_fma_f64 v[14:15], v[10:11], v[68:69], v[230:231]
	s_waitcnt vmcnt(2)
	v_mul_f64 v[8:9], v[146:147], v[86:87]
	v_mul_f64 v[86:87], v[6:7], v[86:87]
	v_fma_f64 v[44:45], v[218:219], v[44:45], -v[152:153]
	v_fma_f64 v[10:11], v[4:5], v[80:81], v[50:51]
	v_and_b32_e32 v50, 0xffff, v124
	v_lshlrev_b32_e32 v51, 3, v128
	v_fma_f64 v[16:17], v[16:17], v[40:41], v[228:229]
	v_lshlrev_b32_e32 v124, 3, v243
	v_fma_f64 v[18:19], v[18:19], v[52:53], v[234:235]
	v_mul_u32_u24_e32 v50, 0x2d0, v50
	v_fma_f64 v[48:49], v[220:221], v[48:49], -v[154:155]
	v_fma_f64 v[60:61], v[224:225], v[60:61], -v[212:213]
	v_add_f64 v[212:213], v[110:111], v[36:37]
	s_waitcnt vmcnt(1) lgkmcnt(0)
	v_mul_f64 v[4:5], v[148:149], v[158:159]
	v_add3_u32 v50, 0, v50, v51
	v_and_b32_e32 v51, 0xffff, v125
	v_fma_f64 v[40:41], v[164:165], v[40:41], -v[168:169]
	v_add_f64 v[164:165], v[110:111], -v[36:37]
	s_delay_alu instid0(VALU_DEP_3) | instskip(SKIP_3) | instid1(VALU_DEP_4)
	v_mul_u32_u24_e32 v51, 0x2d0, v51
	v_fma_f64 v[56:57], v[222:223], v[56:57], -v[208:209]
	v_add_f64 v[168:169], v[38:39], -v[32:33]
	v_add_f64 v[208:209], v[96:97], v[22:23]
	v_add3_u32 v51, 0, v51, v54
	v_and_b32_e32 v54, 0xffff, v130
	v_fma_f64 v[52:53], v[166:167], v[52:53], -v[206:207]
	v_add_f64 v[166:167], v[98:99], v[46:47]
	v_add_f64 v[210:211], v[94:95], v[42:43]
	v_add_f64 v[214:215], v[92:93], v[12:13]
	v_mul_u32_u24_e32 v54, 0x2d0, v54
	v_add_f64 v[206:207], v[28:29], -v[72:73]
	v_add_f64 v[216:217], v[30:31], -v[76:77]
	s_delay_alu instid0(VALU_DEP_3) | instskip(SKIP_3) | instid1(VALU_DEP_2)
	v_add3_u32 v54, 0, v54, v55
	v_fma_f64 v[8:9], v[6:7], v[84:85], v[8:9]
	v_mul_u32_u24_e32 v55, 0x2d0, v129
	v_add_f64 v[220:221], v[90:91], v[10:11]
	v_add3_u32 v228, 0, v55, v58
	v_mul_u32_u24_e32 v55, 0x2d0, v137
	v_lshlrev_b32_e32 v58, 3, v236
	s_delay_alu instid0(VALU_DEP_1)
	v_add3_u32 v229, 0, v55, v58
	v_fma_f64 v[6:7], v[0:1], v[156:157], v[4:5]
	s_waitcnt vmcnt(0)
	v_mul_f64 v[4:5], v[150:151], v[162:163]
	v_mul_f64 v[0:1], v[0:1], v[158:159]
	v_mul_u32_u24_e32 v55, 0x2d0, v136
	v_lshlrev_b32_e32 v58, 3, v237
	v_add_f64 v[136:137], v[46:47], v[16:17]
	v_add_f64 v[158:159], v[104:105], v[112:113]
	v_add_f64 v[218:219], v[44:45], -v[40:41]
	v_add_f64 v[46:47], v[46:47], -v[16:17]
	v_add3_u32 v230, 0, v55, v58
	v_mul_u32_u24_e32 v55, 0x2d0, v139
	v_lshlrev_b32_e32 v58, 3, v238
	v_add_f64 v[16:17], v[166:167], v[16:17]
	s_delay_alu instid0(VALU_DEP_2)
	v_add3_u32 v59, 0, v55, v58
	v_mul_u32_u24_e32 v55, 0x2d0, v138
	v_lshlrev_b32_e32 v58, 3, v239
	v_add_f64 v[138:139], v[22:23], v[18:19]
	v_add_f64 v[22:23], v[22:23], -v[18:19]
	v_add_f64 v[18:19], v[208:209], v[18:19]
	s_delay_alu instid0(VALU_DEP_4) | instskip(SKIP_2) | instid1(VALU_DEP_2)
	v_add3_u32 v58, 0, v55, v58
	v_mul_u32_u24_e32 v55, 0x2d0, v240
	v_add_f64 v[222:223], v[88:89], v[8:9]
	v_add3_u32 v62, 0, v55, v62
	v_add3_u32 v55, 0, v63, v124
	v_fma_f64 v[63:64], v[140:141], v[64:65], -v[66:67]
	v_fma_f64 v[65:66], v[142:143], v[68:69], -v[70:71]
	v_add_f64 v[69:70], v[114:115], v[108:109]
	v_fma_f64 v[67:68], v[144:145], v[80:81], -v[82:83]
	v_add_f64 v[82:83], v[112:113], v[34:35]
	v_fma_f64 v[80:81], v[146:147], v[84:85], -v[86:87]
	v_add_f64 v[84:85], v[116:117], v[24:25]
	v_add_f64 v[86:87], v[118:119], v[26:27]
	v_fma_f64 v[4:5], v[2:3], v[160:161], v[4:5]
	v_mul_f64 v[2:3], v[2:3], v[162:163]
	v_fma_f64 v[0:1], v[148:149], v[156:157], -v[0:1]
	v_add_f64 v[148:149], v[42:43], v[20:21]
	v_add_f64 v[152:153], v[10:11], v[6:7]
	ds_load_b64 v[74:75], v201
	ds_load_b64 v[124:125], v200
	;; [unrolled: 1-line block ×6, first 2 shown]
	v_add_f64 v[156:157], v[106:107], v[114:115]
	v_add_f64 v[162:163], v[102:103], v[118:119]
	v_fma_f64 v[98:99], v[136:137], -0.5, v[98:99]
	v_add_f64 v[114:115], v[114:115], -v[108:109]
	v_add_f64 v[118:119], v[118:119], -v[26:27]
	;; [unrolled: 1-line block ×3, first 2 shown]
	v_add_f64 v[20:21], v[210:211], v[20:21]
	v_add_f64 v[112:113], v[112:113], -v[34:35]
	v_add_f64 v[34:35], v[158:159], v[34:35]
	ds_load_b64 v[140:141], v192
	ds_load_b64 v[142:143], v194
	;; [unrolled: 1-line block ×4, first 2 shown]
	v_add_f64 v[158:159], v[220:221], v[6:7]
	v_fma_f64 v[96:97], v[138:139], -0.5, v[96:97]
	v_add_f64 v[138:139], v[38:39], v[32:33]
	s_waitcnt lgkmcnt(0)
	s_barrier
	buffer_gl0_inv
	v_add_f64 v[110:111], v[78:79], v[110:111]
	v_add_f64 v[38:39], v[74:75], v[38:39]
	v_add_f64 v[6:7], v[10:11], -v[6:7]
	v_add_f64 v[224:225], v[56:57], v[63:64]
	v_add_f64 v[226:227], v[60:61], v[65:66]
	v_fma_f64 v[69:70], v[69:70], -0.5, v[106:107]
	v_add_f64 v[106:107], v[48:49], -v[52:53]
	v_fma_f64 v[82:83], v[82:83], -0.5, v[104:105]
	v_add_f64 v[104:105], v[56:57], -v[63:64]
	v_fma_f64 v[84:85], v[84:85], -0.5, v[100:101]
	v_fma_f64 v[86:87], v[86:87], -0.5, v[102:103]
	v_add_f64 v[154:155], v[8:9], v[4:5]
	v_fma_f64 v[2:3], v[150:151], v[160:161], -v[2:3]
	v_add_f64 v[150:151], v[12:13], v[14:15]
	v_add_f64 v[160:161], v[100:101], v[116:117]
	v_fma_f64 v[94:95], v[148:149], -0.5, v[94:95]
	v_add_f64 v[100:101], v[60:61], -v[65:66]
	v_add_f64 v[148:149], v[28:29], v[72:73]
	v_add_f64 v[102:103], v[67:68], -v[0:1]
	v_fma_f64 v[90:91], v[152:153], -0.5, v[90:91]
	v_add_f64 v[152:153], v[44:45], v[40:41]
	v_add_f64 v[108:109], v[156:157], v[108:109]
	;; [unrolled: 1-line block ×5, first 2 shown]
	v_add_f64 v[116:117], v[116:117], -v[24:25]
	v_add_f64 v[12:13], v[12:13], -v[14:15]
	v_fma_f64 v[14:15], v[212:213], -0.5, v[78:79]
	v_add_f64 v[28:29], v[124:125], v[28:29]
	v_add_f64 v[44:45], v[128:129], v[44:45]
	;; [unrolled: 1-line block ×6, first 2 shown]
	v_fma_f64 v[36:37], v[138:139], -0.5, v[74:75]
	v_fma_f64 v[162:163], v[164:165], s[4:5], v[69:70]
	v_fma_f64 v[69:70], v[164:165], s[10:11], v[69:70]
	;; [unrolled: 1-line block ×6, first 2 shown]
	v_fma_f64 v[88:89], v[154:155], -0.5, v[88:89]
	v_add_f64 v[136:137], v[80:81], -v[2:3]
	v_fma_f64 v[92:93], v[150:151], -0.5, v[92:93]
	v_add_f64 v[150:151], v[30:31], v[76:77]
	v_add_f64 v[154:155], v[48:49], v[52:53]
	;; [unrolled: 1-line block ×4, first 2 shown]
	v_fma_f64 v[168:169], v[216:217], s[4:5], v[86:87]
	v_fma_f64 v[86:87], v[216:217], s[10:11], v[86:87]
	;; [unrolled: 1-line block ×8, first 2 shown]
	v_fma_f64 v[74:75], v[148:149], -0.5, v[124:125]
	v_add_f64 v[30:31], v[126:127], v[30:31]
	v_add_f64 v[160:161], v[222:223], v[4:5]
	v_fma_f64 v[124:125], v[152:153], -0.5, v[128:129]
	v_add_f64 v[48:49], v[130:131], v[48:49]
	v_fma_f64 v[128:129], v[224:225], -0.5, v[140:141]
	v_add_f64 v[4:5], v[8:9], -v[4:5]
	v_add_f64 v[80:81], v[38:39], v[32:33]
	v_add_f64 v[71:72], v[28:29], v[72:73]
	;; [unrolled: 1-line block ×5, first 2 shown]
	v_fma_f64 v[104:105], v[100:101], s[4:5], v[92:93]
	v_fma_f64 v[92:93], v[100:101], s[10:11], v[92:93]
	;; [unrolled: 1-line block ×6, first 2 shown]
	v_fma_f64 v[110:111], v[150:151], -0.5, v[126:127]
	v_fma_f64 v[126:127], v[154:155], -0.5, v[130:131]
	;; [unrolled: 1-line block ×3, first 2 shown]
	ds_store_2addr_b64 v50, v[108:109], v[162:163] offset1:30
	ds_store_b64 v50, v[69:70] offset:480
	ds_store_2addr_b64 v51, v[34:35], v[164:165] offset1:30
	ds_store_b64 v51, v[82:83] offset:480
	;; [unrolled: 2-line block ×9, first 2 shown]
	ds_store_2addr_b64 v55, v[160:161], v[102:103] offset1:30
	v_fma_f64 v[20:21], v[214:215], -0.5, v[146:147]
	v_add_f64 v[16:17], v[144:145], v[67:68]
	v_fma_f64 v[18:19], v[210:211], -0.5, v[144:145]
	v_fma_f64 v[67:68], v[114:115], s[10:11], v[14:15]
	v_fma_f64 v[69:70], v[114:115], s[4:5], v[14:15]
	;; [unrolled: 1-line block ×6, first 2 shown]
	v_add_f64 v[75:76], v[30:31], v[76:77]
	v_fma_f64 v[44:45], v[46:47], s[10:11], v[124:125]
	v_fma_f64 v[46:47], v[46:47], s[4:5], v[124:125]
	v_add_f64 v[48:49], v[48:49], v[52:53]
	v_fma_f64 v[63:64], v[42:43], s[10:11], v[128:129]
	v_fma_f64 v[42:43], v[42:43], s[4:5], v[128:129]
	v_add_f64 v[102:103], v[10:11], v[2:3]
	v_dual_mov_b32 v137, 0 :: v_dual_lshlrev_b32 v136, 1, v170
	ds_store_b64 v55, v[88:89] offset:480
	v_fma_f64 v[88:89], v[118:119], s[10:11], v[110:111]
	v_fma_f64 v[90:91], v[118:119], s[4:5], v[110:111]
	;; [unrolled: 1-line block ×6, first 2 shown]
	s_waitcnt lgkmcnt(0)
	s_barrier
	buffer_gl0_inv
	ds_load_b64 v[148:149], v201
	ds_load_b64 v[146:147], v200
	;; [unrolled: 1-line block ×10, first 2 shown]
	ds_load_2addr_b64 v[36:39], v183 offset0:42 offset1:123
	ds_load_2addr_b64 v[32:35], v184 offset0:84 offset1:165
	v_mov_b32_e32 v233, v137
	v_fma_f64 v[106:107], v[4:5], s[4:5], v[20:21]
	v_add_f64 v[96:97], v[16:17], v[0:1]
	v_fma_f64 v[98:99], v[6:7], s[10:11], v[18:19]
	v_fma_f64 v[100:101], v[6:7], s[4:5], v[18:19]
	;; [unrolled: 1-line block ×3, first 2 shown]
	ds_load_2addr_b64 v[28:31], v185 offset0:76 offset1:157
	ds_load_2addr_b64 v[24:27], v186 offset0:118 offset1:199
	;; [unrolled: 1-line block ×8, first 2 shown]
	s_waitcnt lgkmcnt(0)
	s_barrier
	buffer_gl0_inv
	ds_store_2addr_b64 v50, v[78:79], v[67:68] offset1:30
	ds_store_b64 v50, v[69:70] offset:480
	ds_store_2addr_b64 v51, v[80:81], v[82:83] offset1:30
	ds_store_b64 v51, v[84:85] offset:480
	;; [unrolled: 2-line block ×5, first 2 shown]
	ds_store_2addr_b64 v230, v[48:49], v[52:53] offset1:30
	v_add_nc_u32_e32 v44, -9, v170
	v_lshlrev_b64 v[40:41], 4, v[136:137]
	ds_store_b64 v230, v[92:93] offset:480
	ds_store_2addr_b64 v59, v[56:57], v[63:64] offset1:30
	v_cndmask_b32_e64 v221, v44, v174, s0
	ds_store_b64 v59, v[42:43] offset:480
	ds_store_2addr_b64 v58, v[60:61], v[65:66] offset1:30
	v_mov_b32_e32 v43, v137
	v_add_co_u32 v138, s0, s8, v40
	v_lshlrev_b32_e32 v42, 1, v221
	v_add_co_ci_u32_e64 v139, s0, s9, v41, s0
	ds_store_b64 v58, v[94:95] offset:480
	ds_store_2addr_b64 v62, v[96:97], v[98:99] offset1:30
	ds_store_b64 v62, v[100:101] offset:480
	ds_store_2addr_b64 v55, v[102:103], v[104:105] offset1:30
	v_lshlrev_b64 v[40:41], 4, v[42:43]
	ds_store_b64 v55, v[106:107] offset:480
	s_waitcnt lgkmcnt(0)
	s_barrier
	v_mul_lo_u16 v46, 0xb7, v122
	buffer_gl0_inv
	v_add_co_u32 v44, s0, s8, v40
	s_delay_alu instid0(VALU_DEP_1)
	v_add_co_ci_u32_e64 v45, s0, s9, v41, s0
	global_load_b128 v[40:43], v[138:139], off offset:1280
	v_mul_u32_u24_e32 v47, 0x2d83, v121
	v_lshrrev_b16 v206, 14, v46
	global_load_b128 v[56:59], v[44:45], off offset:1280
	v_mul_u32_u24_e32 v63, 0x2d83, v120
	v_mul_u32_u24_e32 v62, 0x2d83, v123
	v_lshrrev_b32_e32 v208, 20, v47
	v_mul_lo_u16 v46, 0x5a, v206
	v_mul_u32_u24_e32 v74, 0x2d83, v204
	v_lshrrev_b32_e32 v212, 20, v63
	v_lshrrev_b32_e32 v211, 20, v62
	v_mul_lo_u16 v47, 0x5a, v208
	v_sub_nc_u16 v46, v177, v46
	v_mul_u32_u24_e32 v73, 0x2d83, v203
	v_mul_lo_u16 v63, 0x5a, v212
	v_mul_lo_u16 v62, 0x5a, v211
	v_sub_nc_u16 v48, v171, v47
	v_and_b32_e32 v207, 0xff, v46
	s_clause 0x1
	global_load_b128 v[52:55], v[138:139], off offset:1296
	global_load_b128 v[44:47], v[44:45], off offset:1296
	v_sub_nc_u16 v72, v175, v63
	v_sub_nc_u16 v62, v178, v62
	v_and_b32_e32 v209, 0xffff, v48
	v_lshlrev_b32_e32 v60, 5, v207
	v_lshrrev_b32_e32 v215, 20, v74
	v_and_b32_e32 v213, 0xffff, v72
	v_and_b32_e32 v210, 0xffff, v62
	v_lshlrev_b32_e32 v61, 5, v209
	s_clause 0x1
	global_load_b128 v[48:51], v60, s[8:9] offset:1280
	global_load_b128 v[68:71], v60, s[8:9] offset:1296
	v_lshlrev_b32_e32 v80, 5, v213
	v_lshlrev_b32_e32 v84, 5, v210
	global_load_b128 v[64:67], v61, s[8:9] offset:1280
	v_lshrrev_b32_e32 v214, 20, v73
	v_mul_u32_u24_e32 v81, 0x2d83, v205
	s_clause 0x2
	global_load_b128 v[76:79], v80, s[8:9] offset:1280
	global_load_b128 v[60:63], v61, s[8:9] offset:1296
	;; [unrolled: 1-line block ×3, first 2 shown]
	v_mul_lo_u16 v83, 0x5a, v215
	v_mul_u32_u24_e32 v85, 0x2d83, v202
	v_mul_lo_u16 v82, 0x5a, v214
	v_lshrrev_b32_e32 v217, 20, v81
	v_cmp_lt_u32_e64 s0, 8, v170
	v_sub_nc_u16 v81, v176, v83
	v_lshrrev_b32_e32 v83, 20, v85
	v_sub_nc_u16 v82, v172, v82
	v_mul_lo_u16 v85, 0x5a, v217
	v_mul_u32_u24_e32 v234, 0x870, v211
	v_and_b32_e32 v218, 0xffff, v81
	v_mul_lo_u16 v86, 0x5a, v83
	v_and_b32_e32 v219, 0xffff, v82
	global_load_b128 v[80:83], v80, s[8:9] offset:1296
	v_sub_nc_u16 v85, v179, v85
	v_lshlrev_b32_e32 v100, 5, v218
	v_sub_nc_u16 v97, v173, v86
	v_lshlrev_b32_e32 v96, 5, v219
	v_lshlrev_b32_e32 v219, 3, v219
	v_and_b32_e32 v220, 0xffff, v85
	s_clause 0x2
	global_load_b128 v[88:91], v84, s[8:9] offset:1296
	global_load_b128 v[84:87], v100, s[8:9] offset:1280
	;; [unrolled: 1-line block ×3, first 2 shown]
	v_and_b32_e32 v216, 0xffff, v97
	s_clause 0x1
	global_load_b128 v[96:99], v96, s[8:9] offset:1296
	global_load_b128 v[100:103], v100, s[8:9] offset:1296
	v_lshlrev_b32_e32 v218, 3, v218
	v_lshlrev_b32_e32 v108, 5, v220
	;; [unrolled: 1-line block ×4, first 2 shown]
	s_clause 0x3
	global_load_b128 v[104:107], v108, s[8:9] offset:1280
	global_load_b128 v[108:111], v108, s[8:9] offset:1296
	;; [unrolled: 1-line block ×4, first 2 shown]
	ds_load_2addr_b64 v[128:131], v183 offset0:42 offset1:123
	ds_load_2addr_b64 v[124:127], v184 offset0:84 offset1:165
	ds_load_2addr_b64 v[120:123], v185 offset0:76 offset1:157
	ds_load_2addr_b64 v[222:225], v186 offset0:118 offset1:199
	s_waitcnt vmcnt(19) lgkmcnt(3)
	v_mul_f64 v[164:165], v[128:129], v[42:43]
	v_mul_f64 v[166:167], v[36:37], v[42:43]
	s_waitcnt vmcnt(18)
	v_mul_f64 v[162:163], v[130:131], v[58:59]
	v_mul_f64 v[168:169], v[38:39], v[58:59]
	s_waitcnt vmcnt(17) lgkmcnt(2)
	v_mul_f64 v[58:59], v[124:125], v[54:55]
	v_mul_f64 v[160:161], v[32:33], v[54:55]
	s_waitcnt vmcnt(16)
	v_mul_f64 v[54:55], v[126:127], v[46:47]
	v_mul_f64 v[42:43], v[34:35], v[46:47]
	v_cndmask_b32_e64 v46, 0, 0x870, s0
	v_lshlrev_b32_e32 v47, 3, v221
	v_mul_u32_u24_e32 v221, 0x870, v212
	s_waitcnt vmcnt(15) lgkmcnt(1)
	v_mul_f64 v[226:227], v[120:121], v[50:51]
	v_mul_f64 v[228:229], v[28:29], v[50:51]
	v_add3_u32 v46, 0, v46, v47
	v_and_b32_e32 v47, 0xffff, v206
	s_waitcnt vmcnt(13)
	v_mul_f64 v[230:231], v[122:123], v[66:67]
	v_mul_f64 v[66:67], v[30:31], v[66:67]
	v_mul_u32_u24_e32 v50, 0x870, v208
	v_fma_f64 v[164:165], v[36:37], v[40:41], v[164:165]
	v_fma_f64 v[166:167], v[128:129], v[40:41], -v[166:167]
	v_lshlrev_b32_e32 v41, 3, v207
	v_fma_f64 v[162:163], v[38:39], v[56:57], v[162:163]
	ds_load_2addr_b64 v[36:39], v189 offset0:110 offset1:191
	s_waitcnt lgkmcnt(1)
	v_mul_f64 v[206:207], v[222:223], v[70:71]
	v_fma_f64 v[56:57], v[130:131], v[56:57], -v[168:169]
	v_mul_f64 v[70:71], v[24:25], v[70:71]
	s_waitcnt vmcnt(11)
	v_mul_f64 v[168:169], v[224:225], v[62:63]
	v_mul_f64 v[62:63], v[26:27], v[62:63]
	v_mul_u32_u24_e32 v40, 0x870, v47
	v_lshlrev_b32_e32 v47, 3, v209
	ds_load_2addr_b64 v[128:131], v190 offset0:152 offset1:233
	v_add3_u32 v235, 0, v40, v41
	v_add3_u32 v236, 0, v50, v47
	v_fma_f64 v[58:59], v[32:33], v[52:53], v[58:59]
	v_fma_f64 v[124:125], v[124:125], v[52:53], -v[160:161]
	v_fma_f64 v[54:55], v[34:35], v[44:45], v[54:55]
	v_fma_f64 v[44:45], v[126:127], v[44:45], -v[42:43]
	ds_load_2addr_b64 v[50:53], v193 offset0:16 offset1:97
	ds_load_2addr_b64 v[32:35], v195 offset0:58 offset1:139
	;; [unrolled: 1-line block ×3, first 2 shown]
	s_waitcnt lgkmcnt(4)
	v_mul_f64 v[126:127], v[36:37], v[78:79]
	v_mul_f64 v[78:79], v[20:21], v[78:79]
	s_waitcnt vmcnt(10)
	v_mul_f64 v[160:161], v[38:39], v[74:75]
	v_mul_f64 v[74:75], v[22:23], v[74:75]
	v_fma_f64 v[208:209], v[28:29], v[48:49], v[226:227]
	v_fma_f64 v[47:48], v[120:121], v[48:49], -v[228:229]
	v_mul_u32_u24_e32 v227, 0x870, v217
	v_fma_f64 v[120:121], v[30:31], v[64:65], v[230:231]
	ds_load_2addr_b64 v[28:31], v199 offset0:92 offset1:173
	v_fma_f64 v[64:65], v[122:123], v[64:65], -v[66:67]
	s_waitcnt vmcnt(9) lgkmcnt(4)
	v_mul_f64 v[66:67], v[128:129], v[82:83]
	v_lshlrev_b32_e32 v217, 3, v213
	v_mul_u32_u24_e32 v49, 0x870, v214
	v_mul_u32_u24_e32 v226, 0x870, v215
	v_lshlrev_b32_e32 v228, 3, v210
	s_waitcnt vmcnt(8)
	v_mul_f64 v[122:123], v[130:131], v[90:91]
	v_lshl_add_u32 v230, v216, 3, 0
	s_waitcnt vmcnt(7) lgkmcnt(3)
	v_mul_f64 v[212:213], v[52:53], v[86:87]
	s_waitcnt vmcnt(6)
	v_mul_f64 v[210:211], v[50:51], v[94:95]
	v_fma_f64 v[24:25], v[24:25], v[68:69], v[206:207]
	s_waitcnt vmcnt(4) lgkmcnt(2)
	v_mul_f64 v[206:207], v[34:35], v[102:103]
	v_fma_f64 v[68:69], v[222:223], v[68:69], -v[70:71]
	v_mul_f64 v[70:71], v[32:33], v[98:99]
	v_fma_f64 v[26:27], v[26:27], v[60:61], v[168:169]
	s_waitcnt vmcnt(3) lgkmcnt(1)
	v_mul_f64 v[168:169], v[40:41], v[106:107]
	v_add3_u32 v231, 0, v221, v217
	s_waitcnt vmcnt(1)
	v_mul_f64 v[216:217], v[42:43], v[114:115]
	v_fma_f64 v[60:61], v[224:225], v[60:61], -v[62:63]
	s_waitcnt lgkmcnt(0)
	v_mul_f64 v[214:215], v[28:29], v[110:111]
	s_waitcnt vmcnt(0)
	v_mul_f64 v[62:63], v[30:31], v[118:119]
	v_mul_f64 v[82:83], v[16:17], v[82:83]
	;; [unrolled: 1-line block ×4, first 2 shown]
	v_add3_u32 v237, 0, v49, v219
	v_add3_u32 v239, 0, v227, v220
	;; [unrolled: 1-line block ×4, first 2 shown]
	v_add_nc_u32_e32 v240, 0x4000, v230
	v_fma_f64 v[20:21], v[20:21], v[76:77], v[126:127]
	v_fma_f64 v[36:37], v[36:37], v[76:77], -v[78:79]
	v_mul_f64 v[78:79], v[8:9], v[98:99]
	v_fma_f64 v[38:39], v[38:39], v[72:73], -v[74:75]
	v_mul_f64 v[74:75], v[4:5], v[110:111]
	v_mul_f64 v[76:77], v[14:15], v[86:87]
	;; [unrolled: 1-line block ×4, first 2 shown]
	v_fma_f64 v[22:23], v[22:23], v[72:73], v[160:161]
	v_mul_f64 v[72:73], v[2:3], v[114:115]
	v_mul_f64 v[102:103], v[6:7], v[118:119]
	v_fma_f64 v[16:17], v[16:17], v[80:81], v[66:67]
	ds_load_b64 v[66:67], v201
	ds_load_b64 v[110:111], v200
	v_add_co_u32 v106, s0, 0x1000, v138
	v_fma_f64 v[18:19], v[18:19], v[88:89], v[122:123]
	v_add_co_ci_u32_e64 v107, s0, 0, v139, s0
	v_fma_f64 v[14:15], v[14:15], v[84:85], v[212:213]
	v_fma_f64 v[12:13], v[12:13], v[92:93], v[210:211]
	;; [unrolled: 1-line block ×3, first 2 shown]
	v_add_f64 v[210:211], v[166:167], v[124:125]
	v_fma_f64 v[8:9], v[8:9], v[96:97], v[70:71]
	v_add_f64 v[212:213], v[56:57], v[44:45]
	v_fma_f64 v[0:1], v[0:1], v[104:105], v[168:169]
	ds_load_b64 v[70:71], v182
	ds_load_b64 v[114:115], v187
	;; [unrolled: 1-line block ×4, first 2 shown]
	v_fma_f64 v[2:3], v[2:3], v[112:113], v[216:217]
	v_add_f64 v[216:217], v[47:48], v[68:69]
	v_fma_f64 v[4:5], v[4:5], v[108:109], v[214:215]
	v_fma_f64 v[6:7], v[6:7], v[116:117], v[62:63]
	v_fma_f64 v[80:81], v[128:129], v[80:81], -v[82:83]
	v_fma_f64 v[82:83], v[130:131], v[88:89], -v[90:91]
	v_fma_f64 v[49:50], v[50:51], v[92:93], -v[94:95]
	v_add_f64 v[90:91], v[144:145], v[120:121]
	v_add_f64 v[88:89], v[120:121], v[26:27]
	v_add_f64 v[130:131], v[164:165], -v[58:59]
	v_add_f64 v[220:221], v[64:65], v[60:61]
	ds_load_b64 v[62:63], v192
	ds_load_b64 v[126:127], v194
	;; [unrolled: 1-line block ×4, first 2 shown]
	v_add_f64 v[94:95], v[142:143], v[20:21]
	v_add_f64 v[120:121], v[120:121], -v[26:27]
	v_fma_f64 v[32:33], v[32:33], v[96:97], -v[78:79]
	v_add_f64 v[78:79], v[148:149], v[162:163]
	v_fma_f64 v[28:29], v[28:29], v[108:109], -v[74:75]
	v_add_f64 v[74:75], v[150:151], v[164:165]
	v_fma_f64 v[51:52], v[52:53], v[84:85], -v[76:77]
	v_fma_f64 v[34:35], v[34:35], v[100:101], -v[86:87]
	;; [unrolled: 1-line block ×3, first 2 shown]
	v_add_f64 v[84:85], v[208:209], v[24:25]
	v_fma_f64 v[42:43], v[42:43], v[112:113], -v[72:73]
	v_fma_f64 v[30:31], v[30:31], v[116:117], -v[102:103]
	v_add_f64 v[86:87], v[146:147], v[208:209]
	v_add_f64 v[72:73], v[164:165], v[58:59]
	;; [unrolled: 1-line block ×9, first 2 shown]
	v_add_f64 v[162:163], v[162:163], -v[54:55]
	v_add_f64 v[102:103], v[12:13], v[8:9]
	v_add_f64 v[208:209], v[208:209], -v[24:25]
	v_add_f64 v[100:101], v[166:167], -v[124:125]
	s_waitcnt lgkmcnt(9)
	v_add_f64 v[214:215], v[66:67], v[56:57]
	s_waitcnt lgkmcnt(8)
	v_add_f64 v[218:219], v[110:111], v[47:48]
	v_add_f64 v[47:48], v[47:48], -v[68:69]
	v_add_f64 v[116:117], v[0:1], v[4:5]
	v_add_f64 v[164:165], v[2:3], v[6:7]
	;; [unrolled: 1-line block ×4, first 2 shown]
	s_waitcnt lgkmcnt(7)
	v_add_f64 v[166:167], v[70:71], v[166:167]
	v_add_f64 v[26:27], v[90:91], v[26:27]
	v_fma_f64 v[88:89], v[88:89], -0.5, v[144:145]
	s_waitcnt lgkmcnt(6)
	v_add_f64 v[222:223], v[114:115], v[64:65]
	v_add_f64 v[22:23], v[22:23], -v[18:19]
	s_waitcnt lgkmcnt(5)
	v_add_f64 v[226:227], v[118:119], v[36:37]
	v_add_f64 v[64:65], v[64:65], -v[60:61]
	v_add_f64 v[36:37], v[36:37], -v[80:81]
	v_fma_f64 v[70:71], v[210:211], -0.5, v[70:71]
	v_add_f64 v[53:54], v[78:79], v[54:55]
	v_add_f64 v[55:56], v[56:57], -v[44:45]
	v_add_f64 v[58:59], v[74:75], v[58:59]
	v_add_f64 v[74:75], v[49:50], v[32:33]
	;; [unrolled: 1-line block ×3, first 2 shown]
	s_waitcnt lgkmcnt(1)
	v_add_f64 v[90:91], v[160:161], v[40:41]
	v_fma_f64 v[84:85], v[84:85], -0.5, v[146:147]
	v_add_f64 v[146:147], v[40:41], v[28:29]
	v_add_f64 v[144:145], v[126:127], v[51:52]
	;; [unrolled: 1-line block ×4, first 2 shown]
	v_fma_f64 v[72:73], v[72:73], -0.5, v[150:151]
	v_add_f64 v[150:151], v[122:123], v[38:39]
	v_fma_f64 v[92:93], v[92:93], -0.5, v[142:143]
	s_waitcnt lgkmcnt(0)
	v_add_f64 v[142:143], v[168:169], v[42:43]
	v_fma_f64 v[76:77], v[76:77], -0.5, v[148:149]
	v_add_f64 v[148:149], v[62:63], v[49:50]
	v_add_f64 v[51:52], v[51:52], -v[34:35]
	v_add_f64 v[18:19], v[98:99], v[18:19]
	v_fma_f64 v[98:99], v[108:109], -0.5, v[156:157]
	v_fma_f64 v[66:67], v[212:213], -0.5, v[66:67]
	v_add_f64 v[20:21], v[20:21], -v[16:17]
	v_add_f64 v[38:39], v[38:39], -v[82:83]
	;; [unrolled: 1-line block ×3, first 2 shown]
	v_add_f64 v[16:17], v[94:95], v[16:17]
	v_fma_f64 v[94:95], v[96:97], -0.5, v[140:141]
	v_fma_f64 v[96:97], v[102:103], -0.5, v[158:159]
	;; [unrolled: 1-line block ×4, first 2 shown]
	v_add_f64 v[12:13], v[12:13], -v[8:9]
	v_add_f64 v[49:50], v[49:50], -v[32:33]
	;; [unrolled: 1-line block ×3, first 2 shown]
	v_add_f64 v[8:9], v[104:105], v[8:9]
	v_fma_f64 v[104:105], v[164:165], -0.5, v[152:153]
	v_add_f64 v[14:15], v[14:15], -v[10:11]
	v_add_f64 v[10:11], v[112:113], v[10:11]
	v_fma_f64 v[112:113], v[220:221], -0.5, v[114:115]
	v_fma_f64 v[114:115], v[224:225], -0.5, v[118:119]
	v_add_f64 v[128:129], v[154:155], v[0:1]
	v_fma_f64 v[116:117], v[228:229], -0.5, v[122:123]
	v_add_f64 v[206:207], v[152:153], v[2:3]
	v_fma_f64 v[62:63], v[74:75], -0.5, v[62:63]
	v_fma_f64 v[74:75], v[78:79], -0.5, v[126:127]
	v_add_f64 v[0:1], v[0:1], -v[4:5]
	v_add_f64 v[2:3], v[2:3], -v[6:7]
	v_fma_f64 v[78:79], v[146:147], -0.5, v[160:161]
	v_add_f64 v[90:91], v[90:91], v[28:29]
	v_add_f64 v[108:109], v[166:167], v[124:125]
	v_fma_f64 v[86:87], v[86:87], -0.5, v[168:169]
	v_fma_f64 v[28:29], v[100:101], s[4:5], v[72:73]
	v_add_f64 v[82:83], v[150:151], v[82:83]
	v_add_f64 v[44:45], v[214:215], v[44:45]
	;; [unrolled: 1-line block ×3, first 2 shown]
	v_fma_f64 v[30:31], v[100:101], s[10:11], v[72:73]
	v_add_f64 v[146:147], v[148:149], v[32:33]
	v_fma_f64 v[32:33], v[55:56], s[4:5], v[76:77]
	v_add_f64 v[148:149], v[144:145], v[34:35]
	v_fma_f64 v[34:35], v[55:56], s[10:11], v[76:77]
	v_fma_f64 v[55:56], v[47:48], s[4:5], v[84:85]
	;; [unrolled: 1-line block ×13, first 2 shown]
	v_add_f64 v[68:69], v[218:219], v[68:69]
	v_fma_f64 v[84:85], v[38:39], s[4:5], v[94:95]
	v_fma_f64 v[38:39], v[38:39], s[10:11], v[94:95]
	;; [unrolled: 1-line block ×10, first 2 shown]
	v_add_f64 v[60:61], v[222:223], v[60:61]
	v_fma_f64 v[110:111], v[120:121], s[10:11], v[112:113]
	v_fma_f64 v[112:113], v[120:121], s[4:5], v[112:113]
	v_add_f64 v[80:81], v[226:227], v[80:81]
	v_fma_f64 v[152:153], v[20:21], s[10:11], v[114:115]
	v_fma_f64 v[114:115], v[20:21], s[4:5], v[114:115]
	;; [unrolled: 3-line block ×4, first 2 shown]
	v_fma_f64 v[158:159], v[14:15], s[10:11], v[74:75]
	v_fma_f64 v[74:75], v[14:15], s[4:5], v[74:75]
	;; [unrolled: 1-line block ×6, first 2 shown]
	s_barrier
	buffer_gl0_inv
	ds_store_2addr_b64 v182, v[58:59], v[28:29] offset1:90
	ds_store_b64 v182, v[30:31] offset:1440
	ds_store_2addr_b64 v46, v[53:54], v[32:33] offset1:90
	ds_store_b64 v46, v[34:35] offset:1440
	;; [unrolled: 2-line block ×9, first 2 shown]
	ds_store_2addr_b64 v240, v[6:7], v[96:97] offset0:112 offset1:202
	ds_store_b64 v230, v[42:43] offset:18720
	v_lshlrev_b64 v[40:41], 4, v[232:233]
	s_waitcnt lgkmcnt(0)
	s_barrier
	buffer_gl0_inv
	v_mov_b32_e32 v51, v137
	v_mov_b32_e32 v52, v137
	;; [unrolled: 1-line block ×3, first 2 shown]
	ds_load_b64 v[142:143], v201
	ds_load_b64 v[130:131], v200
	;; [unrolled: 1-line block ×10, first 2 shown]
	ds_load_2addr_b64 v[36:39], v183 offset0:42 offset1:123
	ds_load_2addr_b64 v[32:35], v184 offset0:84 offset1:165
	;; [unrolled: 1-line block ×10, first 2 shown]
	s_waitcnt lgkmcnt(0)
	s_barrier
	buffer_gl0_inv
	ds_store_2addr_b64 v182, v[108:109], v[98:99] offset1:90
	ds_store_b64 v182, v[70:71] offset:1440
	ds_store_2addr_b64 v46, v[44:45], v[100:101] offset1:90
	ds_store_b64 v46, v[66:67] offset:1440
	;; [unrolled: 2-line block ×9, first 2 shown]
	ds_store_2addr_b64 v240, v[150:151], v[162:163] offset0:112 offset1:202
	v_add_co_u32 v146, s0, s8, v40
	s_delay_alu instid0(VALU_DEP_1) | instskip(SKIP_1) | instid1(VALU_DEP_3)
	v_add_co_ci_u32_e64 v147, s0, s9, v41, s0
	v_subrev_nc_u32_e32 v40, 27, v170
	v_add_co_u32 v48, s0, 0x1000, v146
	s_delay_alu instid0(VALU_DEP_1)
	v_add_co_ci_u32_e64 v49, s0, 0, v147, s0
	v_cmp_gt_u32_e64 s0, 27, v170
	v_lshlrev_b32_e32 v50, 1, v177
	v_add_nc_u32_e32 v55, 0x6c, v136
	v_add_nc_u32_e32 v136, 0x10e, v136
	ds_store_b64 v230, v[86:87] offset:18720
	v_cndmask_b32_e64 v150, v40, v171, s0
	v_add_co_u32 v40, s0, 0x1040, v138
	s_delay_alu instid0(VALU_DEP_1) | instskip(SKIP_1) | instid1(VALU_DEP_1)
	v_add_co_ci_u32_e64 v41, s0, 0, v139, s0
	v_add_co_u32 v53, s0, 0x1040, v146
	v_add_co_ci_u32_e64 v54, s0, 0, v147, s0
	s_waitcnt lgkmcnt(0)
	s_barrier
	buffer_gl0_inv
	s_clause 0x3
	global_load_b128 v[44:47], v[106:107], off offset:64
	global_load_b128 v[40:43], v[40:41], off offset:16
	global_load_b128 v[112:115], v[48:49], off offset:64
	global_load_b128 v[108:111], v[53:54], off offset:16
	v_lshlrev_b64 v[48:49], 4, v[50:51]
	v_lshlrev_b32_e32 v51, 1, v150
	v_mul_u32_u24_e32 v57, 0x795d, v203
	v_mul_u32_u24_e32 v58, 0x795d, v204
	;; [unrolled: 1-line block ×4, first 2 shown]
	v_lshlrev_b64 v[50:51], 4, v[51:52]
	v_add_co_u32 v148, s0, s8, v48
	s_delay_alu instid0(VALU_DEP_1)
	v_add_co_ci_u32_e64 v149, s0, s9, v49, s0
	v_lshlrev_b64 v[53:54], 4, v[55:56]
	v_lshlrev_b64 v[55:56], 4, v[136:137]
	v_lshrrev_b32_e32 v136, 23, v57
	v_lshrrev_b32_e32 v57, 23, v58
	;; [unrolled: 1-line block ×4, first 2 shown]
	v_add_co_u32 v60, s0, s8, v50
	s_delay_alu instid0(VALU_DEP_1) | instskip(SKIP_1) | instid1(VALU_DEP_1)
	v_add_co_ci_u32_e64 v61, s0, s9, v51, s0
	v_add_co_u32 v48, s0, 0x1000, v148
	v_add_co_ci_u32_e64 v49, s0, 0, v149, s0
	s_delay_alu instid0(VALU_DEP_4) | instskip(NEXT) | instid1(VALU_DEP_1)
	v_add_co_u32 v50, s0, 0x1000, v60
	v_add_co_ci_u32_e64 v51, s0, 0, v61, s0
	v_add_co_u32 v68, s0, s8, v53
	v_mul_lo_u16 v52, 0x10e, v136
	v_add_co_ci_u32_e64 v69, s0, s9, v54, s0
	v_add_co_u32 v70, s0, s8, v55
	s_delay_alu instid0(VALU_DEP_1) | instskip(NEXT) | instid1(VALU_DEP_4)
	v_add_co_ci_u32_e64 v56, s0, s9, v56, s0
	v_sub_nc_u16 v71, v172, v52
	v_add_co_u32 v52, s0, 0x1040, v148
	s_delay_alu instid0(VALU_DEP_1)
	v_add_co_ci_u32_e64 v53, s0, 0, v149, s0
	v_add_co_u32 v54, s0, 0x1040, v60
	v_mul_lo_u16 v57, 0x10e, v57
	v_add_co_ci_u32_e64 v55, s0, 0, v61, s0
	v_mul_lo_u16 v58, 0x10e, v58
	s_clause 0x3
	global_load_b128 v[155:158], v[48:49], off offset:64
	global_load_b128 v[64:67], v[52:53], off offset:16
	global_load_b128 v[159:162], v[50:51], off offset:64
	global_load_b128 v[60:63], v[54:55], off offset:16
	v_add_co_u32 v48, s0, 0x1000, v68
	v_mul_lo_u16 v59, 0x10e, v59
	v_add_co_ci_u32_e64 v49, s0, 0, v69, s0
	v_sub_nc_u16 v57, v176, v57
	v_add_co_u32 v50, s0, 0x1040, v68
	v_sub_nc_u16 v58, v179, v58
	v_add_co_ci_u32_e64 v51, s0, 0, v69, s0
	v_add_co_u32 v52, s0, 0x1000, v70
	v_and_b32_e32 v154, 0xffff, v71
	v_sub_nc_u16 v59, v173, v59
	v_add_co_ci_u32_e64 v53, s0, 0, v56, s0
	v_and_b32_e32 v151, 0xffff, v57
	v_add_co_u32 v54, s0, 0x1040, v70
	v_and_b32_e32 v152, 0xffff, v58
	v_add_co_ci_u32_e64 v55, s0, 0, v56, s0
	v_lshlrev_b32_e32 v56, 5, v154
	v_and_b32_e32 v153, 0xffff, v59
	v_lshlrev_b32_e32 v57, 5, v151
	v_lshlrev_b32_e32 v58, 5, v152
	s_clause 0x1
	global_load_b128 v[84:87], v[48:49], off offset:64
	global_load_b128 v[48:51], v[50:51], off offset:16
	v_add_co_u32 v70, s0, s8, v56
	v_lshlrev_b32_e32 v59, 5, v153
	v_add_co_ci_u32_e64 v71, null, s9, 0, s0
	v_add_co_u32 v72, s0, s8, v57
	s_delay_alu instid0(VALU_DEP_1) | instskip(SKIP_1) | instid1(VALU_DEP_1)
	v_add_co_ci_u32_e64 v73, null, s9, 0, s0
	v_add_co_u32 v74, s0, s8, v58
	v_add_co_ci_u32_e64 v75, null, s9, 0, s0
	v_add_co_u32 v90, s0, s8, v59
	s_delay_alu instid0(VALU_DEP_1) | instskip(SKIP_1) | instid1(VALU_DEP_1)
	v_add_co_ci_u32_e64 v91, null, s9, 0, s0
	v_add_co_u32 v68, s0, 0x1000, v70
	v_add_co_ci_u32_e64 v69, s0, 0, v71, s0
	v_add_co_u32 v76, s0, 0x1000, v72
	s_delay_alu instid0(VALU_DEP_1) | instskip(SKIP_1) | instid1(VALU_DEP_1)
	v_add_co_ci_u32_e64 v77, s0, 0, v73, s0
	v_add_co_u32 v70, s0, 0x1040, v70
	v_add_co_ci_u32_e64 v71, s0, 0, v71, s0
	v_add_co_u32 v78, s0, 0x1040, v72
	s_delay_alu instid0(VALU_DEP_1) | instskip(SKIP_1) | instid1(VALU_DEP_1)
	v_add_co_ci_u32_e64 v79, s0, 0, v73, s0
	v_add_co_u32 v88, s0, 0x1000, v74
	v_add_co_ci_u32_e64 v89, s0, 0, v75, s0
	s_clause 0x1
	global_load_b128 v[56:59], v[52:53], off offset:64
	global_load_b128 v[52:55], v[54:55], off offset:16
	v_add_co_u32 v92, s0, 0x1040, v74
	s_delay_alu instid0(VALU_DEP_1) | instskip(SKIP_1) | instid1(VALU_DEP_1)
	v_add_co_ci_u32_e64 v93, s0, 0, v75, s0
	v_add_co_u32 v94, s0, 0x1000, v90
	v_add_co_ci_u32_e64 v95, s0, 0, v91, s0
	s_clause 0x3
	global_load_b128 v[72:75], v[68:69], off offset:64
	global_load_b128 v[68:71], v[70:71], off offset:16
	;; [unrolled: 1-line block ×4, first 2 shown]
	v_add_co_u32 v100, s0, 0x1040, v90
	s_delay_alu instid0(VALU_DEP_1)
	v_add_co_ci_u32_e64 v101, s0, 0, v91, s0
	s_clause 0x3
	global_load_b128 v[88:91], v[88:89], off offset:64
	global_load_b128 v[96:99], v[94:95], off offset:64
	;; [unrolled: 1-line block ×4, first 2 shown]
	ds_load_2addr_b64 v[163:166], v183 offset0:42 offset1:123
	ds_load_2addr_b64 v[202:205], v184 offset0:84 offset1:165
	;; [unrolled: 1-line block ×4, first 2 shown]
	v_cmp_lt_u32_e64 s0, 26, v170
	v_lshlrev_b32_e32 v150, 3, v150
	v_lshl_add_u32 v237, v151, 3, 0
	v_lshl_add_u32 v238, v152, 3, 0
	;; [unrolled: 1-line block ×3, first 2 shown]
	v_cndmask_b32_e64 v232, 0, 0x1950, s0
	v_mul_u32_u24_e32 v136, 0x1950, v136
	v_lshlrev_b32_e32 v154, 3, v154
	v_lshl_add_u32 v169, v170, 3, 0
	s_delay_alu instid0(VALU_DEP_4) | instskip(NEXT) | instid1(VALU_DEP_3)
	v_add3_u32 v236, 0, v232, v150
	v_add3_u32 v136, 0, v136, v154
	s_waitcnt vmcnt(19) lgkmcnt(3)
	v_mul_f64 v[167:168], v[163:164], v[46:47]
	v_mul_f64 v[46:47], v[36:37], v[46:47]
	s_waitcnt vmcnt(17)
	v_mul_f64 v[210:211], v[165:166], v[114:115]
	v_mul_f64 v[212:213], v[38:39], v[114:115]
	;; [unrolled: 1-line block ×3, first 2 shown]
	s_waitcnt vmcnt(16) lgkmcnt(2)
	v_mul_f64 v[218:219], v[204:205], v[110:111]
	v_mul_f64 v[214:215], v[202:203], v[42:43]
	ds_load_2addr_b64 v[114:117], v186 offset0:118 offset1:199
	v_mul_f64 v[220:221], v[34:35], v[110:111]
	v_fma_f64 v[167:168], v[36:37], v[44:45], v[167:168]
	v_fma_f64 v[46:47], v[163:164], v[44:45], -v[46:47]
	ds_load_2addr_b64 v[42:45], v190 offset0:152 offset1:233
	v_fma_f64 v[210:211], v[38:39], v[112:113], v[210:211]
	ds_load_2addr_b64 v[36:39], v193 offset0:16 offset1:97
	v_fma_f64 v[165:166], v[165:166], v[112:113], -v[212:213]
	ds_load_2addr_b64 v[110:113], v195 offset0:58 offset1:139
	v_fma_f64 v[202:203], v[202:203], v[40:41], -v[216:217]
	v_fma_f64 v[216:217], v[34:35], v[108:109], v[218:219]
	v_fma_f64 v[214:215], v[32:33], v[40:41], v[214:215]
	ds_load_2addr_b64 v[32:35], v199 offset0:92 offset1:173
	s_waitcnt vmcnt(15) lgkmcnt(6)
	v_mul_f64 v[222:223], v[206:207], v[157:158]
	v_mul_f64 v[157:158], v[28:29], v[157:158]
	s_waitcnt vmcnt(13)
	v_mul_f64 v[224:225], v[208:209], v[161:162]
	v_mul_f64 v[226:227], v[30:31], v[161:162]
	s_waitcnt lgkmcnt(4)
	v_mul_f64 v[228:229], v[114:115], v[66:67]
	v_mul_f64 v[66:67], v[24:25], v[66:67]
	s_waitcnt vmcnt(12)
	v_mul_f64 v[212:213], v[116:117], v[62:63]
	v_mul_f64 v[62:63], v[26:27], v[62:63]
	ds_load_2addr_b64 v[161:164], v198 offset0:50 offset1:131
	v_fma_f64 v[108:109], v[204:205], v[108:109], -v[220:221]
	v_add_nc_u32_e32 v40, 0x1800, v169
	v_add_nc_u32_e32 v41, 0x2000, v169
	v_add_nc_u32_e32 v169, 0x2800, v169
	s_waitcnt vmcnt(11)
	v_mul_f64 v[218:219], v[104:105], v[86:87]
	v_mul_f64 v[86:87], v[20:21], v[86:87]
	v_fma_f64 v[28:29], v[28:29], v[155:156], v[222:223]
	v_fma_f64 v[155:156], v[206:207], v[155:156], -v[157:158]
	s_waitcnt vmcnt(10) lgkmcnt(4)
	v_mul_f64 v[157:158], v[42:43], v[50:51]
	v_fma_f64 v[30:31], v[30:31], v[159:160], v[224:225]
	v_fma_f64 v[159:160], v[208:209], v[159:160], -v[226:227]
	v_fma_f64 v[24:25], v[24:25], v[64:65], v[228:229]
	v_fma_f64 v[64:65], v[114:115], v[64:65], -v[66:67]
	v_fma_f64 v[26:27], v[26:27], v[60:61], v[212:213]
	v_mul_f64 v[50:51], v[16:17], v[50:51]
	v_fma_f64 v[60:61], v[116:117], v[60:61], -v[62:63]
	s_waitcnt vmcnt(9)
	v_mul_f64 v[204:205], v[106:107], v[58:59]
	s_waitcnt vmcnt(8)
	v_mul_f64 v[206:207], v[44:45], v[54:55]
	v_mul_f64 v[58:59], v[22:23], v[58:59]
	v_mul_f64 v[54:55], v[18:19], v[54:55]
	v_fma_f64 v[20:21], v[20:21], v[84:85], v[218:219]
	s_waitcnt vmcnt(7) lgkmcnt(3)
	v_mul_f64 v[220:221], v[36:37], v[74:75]
	s_waitcnt vmcnt(6) lgkmcnt(2)
	v_mul_f64 v[208:209], v[110:111], v[70:71]
	s_waitcnt vmcnt(5)
	v_mul_f64 v[222:223], v[38:39], v[82:83]
	s_waitcnt vmcnt(4)
	v_mul_f64 v[224:225], v[112:113], v[78:79]
	v_mul_f64 v[62:63], v[12:13], v[74:75]
	s_waitcnt vmcnt(3) lgkmcnt(0)
	v_mul_f64 v[226:227], v[161:162], v[90:91]
	s_waitcnt vmcnt(2)
	v_mul_f64 v[230:231], v[163:164], v[98:99]
	s_waitcnt vmcnt(1)
	;; [unrolled: 2-line block ×3, first 2 shown]
	v_mul_f64 v[114:115], v[34:35], v[102:103]
	v_mul_f64 v[74:75], v[14:15], v[82:83]
	;; [unrolled: 1-line block ×4, first 2 shown]
	v_fma_f64 v[82:83], v[104:105], v[84:85], -v[86:87]
	v_mul_f64 v[84:85], v[4:5], v[90:91]
	v_mul_f64 v[86:87], v[6:7], v[98:99]
	;; [unrolled: 1-line block ×4, first 2 shown]
	v_fma_f64 v[16:17], v[16:17], v[48:49], v[157:158]
	v_fma_f64 v[42:43], v[42:43], v[48:49], -v[50:51]
	ds_load_b64 v[98:99], v201
	ds_load_b64 v[102:103], v200
	;; [unrolled: 1-line block ×6, first 2 shown]
	v_add_f64 v[212:213], v[155:156], v[64:65]
	v_fma_f64 v[22:23], v[22:23], v[56:57], v[204:205]
	v_fma_f64 v[18:19], v[18:19], v[52:53], v[206:207]
	v_fma_f64 v[56:57], v[106:107], v[56:57], -v[58:59]
	v_fma_f64 v[44:45], v[44:45], v[52:53], -v[54:55]
	v_add_f64 v[58:59], v[167:168], v[214:215]
	v_add_f64 v[106:107], v[210:211], -v[216:217]
	v_fma_f64 v[12:13], v[12:13], v[72:73], v[220:221]
	v_fma_f64 v[8:9], v[8:9], v[68:69], v[208:209]
	;; [unrolled: 1-line block ×4, first 2 shown]
	v_fma_f64 v[36:37], v[36:37], v[72:73], -v[62:63]
	v_fma_f64 v[4:5], v[4:5], v[88:89], v[226:227]
	v_fma_f64 v[6:7], v[6:7], v[96:97], v[230:231]
	;; [unrolled: 1-line block ×4, first 2 shown]
	v_fma_f64 v[38:39], v[38:39], v[80:81], -v[74:75]
	v_fma_f64 v[48:49], v[110:111], v[68:69], -v[70:71]
	;; [unrolled: 1-line block ×3, first 2 shown]
	v_add_f64 v[68:69], v[28:29], v[24:25]
	v_fma_f64 v[52:53], v[161:162], v[88:89], -v[84:85]
	v_fma_f64 v[54:55], v[163:164], v[96:97], -v[86:87]
	;; [unrolled: 1-line block ×4, first 2 shown]
	v_add_f64 v[70:71], v[30:31], v[26:27]
	v_add_f64 v[72:73], v[144:145], v[167:168]
	;; [unrolled: 1-line block ×9, first 2 shown]
	ds_load_b64 v[66:67], v192
	ds_load_b64 v[114:115], v194
	;; [unrolled: 1-line block ×4, first 2 shown]
	v_add_f64 v[94:95], v[165:166], v[108:109]
	v_add_f64 v[96:97], v[165:166], -v[108:109]
	s_waitcnt lgkmcnt(9)
	v_add_f64 v[110:111], v[98:99], v[165:166]
	v_add_f64 v[220:221], v[159:160], v[60:61]
	;; [unrolled: 1-line block ×6, first 2 shown]
	v_fma_f64 v[58:59], v[58:59], -0.5, v[144:145]
	v_add_f64 v[92:93], v[46:47], -v[202:203]
	v_add_f64 v[100:101], v[167:168], -v[214:215]
	s_waitcnt lgkmcnt(8)
	v_add_f64 v[218:219], v[102:103], v[155:156]
	v_add_f64 v[112:113], v[12:13], v[8:9]
	v_add_f64 v[154:155], v[155:156], -v[64:65]
	v_add_f64 v[161:162], v[14:15], v[10:11]
	s_waitcnt lgkmcnt(6)
	v_add_f64 v[222:223], v[116:117], v[159:160]
	v_add_f64 v[159:160], v[159:160], -v[60:61]
	v_add_f64 v[28:29], v[28:29], -v[24:25]
	v_add_f64 v[163:164], v[4:5], v[0:1]
	v_add_f64 v[165:166], v[6:7], v[2:3]
	v_add_f64 v[30:31], v[30:31], -v[26:27]
	v_add_f64 v[232:233], v[36:37], v[48:49]
	v_add_f64 v[144:145], v[38:39], v[50:51]
	v_fma_f64 v[68:69], v[68:69], -0.5, v[130:131]
	s_waitcnt lgkmcnt(5)
	v_add_f64 v[224:225], v[150:151], v[82:83]
	s_waitcnt lgkmcnt(4)
	v_add_f64 v[226:227], v[152:153], v[56:57]
	v_add_f64 v[130:131], v[52:53], v[32:33]
	v_add_f64 v[82:83], v[82:83], -v[42:43]
	v_fma_f64 v[70:71], v[70:71], -0.5, v[140:141]
	v_add_f64 v[140:141], v[54:55], v[34:35]
	v_add_f64 v[72:73], v[72:73], v[214:215]
	s_waitcnt lgkmcnt(1)
	v_add_f64 v[214:215], v[157:158], v[52:53]
	v_add_f64 v[74:75], v[74:75], v[216:217]
	s_waitcnt lgkmcnt(0)
	v_add_f64 v[216:217], v[204:205], v[54:55]
	v_fma_f64 v[62:63], v[62:63], -0.5, v[142:143]
	v_add_f64 v[56:57], v[56:57], -v[44:45]
	v_add_f64 v[24:25], v[76:77], v[24:25]
	v_add_f64 v[26:27], v[78:79], v[26:27]
	v_fma_f64 v[76:77], v[86:87], -0.5, v[126:127]
	v_add_f64 v[167:168], v[118:119], v[12:13]
	v_add_f64 v[234:235], v[66:67], v[36:37]
	v_add_f64 v[36:37], v[36:37], -v[48:49]
	v_add_f64 v[206:207], v[120:121], v[14:15]
	v_fma_f64 v[78:79], v[88:89], -0.5, v[128:129]
	v_add_f64 v[20:21], v[20:21], -v[16:17]
	v_add_f64 v[142:143], v[114:115], v[38:39]
	v_add_f64 v[38:39], v[38:39], -v[50:51]
	v_add_f64 v[16:17], v[80:81], v[16:17]
	v_fma_f64 v[80:81], v[90:91], -0.5, v[104:105]
	v_add_f64 v[208:209], v[122:123], v[4:5]
	v_fma_f64 v[86:87], v[112:113], -0.5, v[118:119]
	v_add_f64 v[52:53], v[52:53], -v[32:33]
	v_fma_f64 v[88:89], v[161:162], -0.5, v[120:121]
	v_add_f64 v[210:211], v[124:125], v[6:7]
	v_add_f64 v[22:23], v[22:23], -v[18:19]
	v_add_f64 v[54:55], v[54:55], -v[34:35]
	v_fma_f64 v[90:91], v[163:164], -0.5, v[122:123]
	v_add_f64 v[18:19], v[84:85], v[18:19]
	v_fma_f64 v[84:85], v[94:95], -0.5, v[98:99]
	v_fma_f64 v[94:95], v[165:166], -0.5, v[124:125]
	v_add_f64 v[46:47], v[104:105], v[46:47]
	v_add_f64 v[12:13], v[12:13], -v[8:9]
	v_add_f64 v[14:15], v[14:15], -v[10:11]
	;; [unrolled: 1-line block ×4, first 2 shown]
	v_add_f64 v[98:99], v[110:111], v[108:109]
	v_fma_f64 v[102:103], v[212:213], -0.5, v[102:103]
	v_fma_f64 v[104:105], v[220:221], -0.5, v[116:117]
	;; [unrolled: 1-line block ×8, first 2 shown]
	v_add_f64 v[118:119], v[214:215], v[32:33]
	v_fma_f64 v[32:33], v[92:93], s[4:5], v[58:59]
	v_add_f64 v[120:121], v[216:217], v[34:35]
	v_fma_f64 v[34:35], v[92:93], s[10:11], v[58:59]
	v_fma_f64 v[58:59], v[96:97], s[4:5], v[62:63]
	;; [unrolled: 1-line block ×11, first 2 shown]
	v_add_f64 v[8:9], v[167:168], v[8:9]
	v_fma_f64 v[78:79], v[36:37], s[4:5], v[86:87]
	v_fma_f64 v[36:37], v[36:37], s[10:11], v[86:87]
	v_add_f64 v[10:11], v[206:207], v[10:11]
	v_fma_f64 v[126:127], v[100:101], s[10:11], v[80:81]
	v_fma_f64 v[100:101], v[100:101], s[4:5], v[80:81]
	;; [unrolled: 1-line block ×4, first 2 shown]
	v_add_f64 v[0:1], v[208:209], v[0:1]
	v_fma_f64 v[82:83], v[52:53], s[4:5], v[90:91]
	v_fma_f64 v[52:53], v[52:53], s[10:11], v[90:91]
	v_add_f64 v[2:3], v[210:211], v[2:3]
	v_fma_f64 v[128:129], v[106:107], s[10:11], v[84:85]
	v_fma_f64 v[106:107], v[106:107], s[4:5], v[84:85]
	;; [unrolled: 1-line block ×4, first 2 shown]
	s_barrier
	buffer_gl0_inv
	v_add_f64 v[46:47], v[46:47], v[202:203]
	v_add_f64 v[50:51], v[142:143], v[50:51]
	v_fma_f64 v[130:131], v[28:29], s[10:11], v[102:103]
	v_fma_f64 v[102:103], v[28:29], s[4:5], v[102:103]
	;; [unrolled: 1-line block ×16, first 2 shown]
	ds_store_b64 v182, v[72:73]
	ds_store_b64 v182, v[32:33] offset:2160
	ds_store_b64 v182, v[34:35] offset:4320
	ds_store_b64 v201, v[74:75]
	ds_store_b64 v201, v[58:59] offset:2160
	ds_store_b64 v201, v[62:63] offset:4320
	;; [unrolled: 3-line block ×4, first 2 shown]
	ds_store_2addr_b64 v40, v[16:17], v[18:19] offset0:96 offset1:177
	ds_store_2addr_b64 v41, v[122:123], v[124:125] offset0:110 offset1:191
	;; [unrolled: 1-line block ×3, first 2 shown]
	ds_store_b64 v136, v[8:9]
	ds_store_b64 v136, v[78:79] offset:2160
	ds_store_b64 v136, v[36:37] offset:4320
	;; [unrolled: 1-line block ×11, first 2 shown]
	s_waitcnt lgkmcnt(0)
	s_barrier
	buffer_gl0_inv
	ds_load_b64 v[92:93], v201
	ds_load_b64 v[94:95], v200
	;; [unrolled: 1-line block ×10, first 2 shown]
	ds_load_2addr_b64 v[36:39], v183 offset0:42 offset1:123
	ds_load_2addr_b64 v[32:35], v184 offset0:84 offset1:165
	;; [unrolled: 1-line block ×10, first 2 shown]
	v_add_f64 v[64:65], v[218:219], v[64:65]
	v_add_f64 v[60:61], v[222:223], v[60:61]
	;; [unrolled: 1-line block ×5, first 2 shown]
	s_waitcnt lgkmcnt(0)
	s_barrier
	buffer_gl0_inv
	ds_store_b64 v182, v[46:47]
	ds_store_b64 v182, v[126:127] offset:2160
	ds_store_b64 v182, v[100:101] offset:4320
	ds_store_b64 v201, v[98:99]
	ds_store_b64 v201, v[128:129] offset:2160
	ds_store_b64 v201, v[106:107] offset:4320
	;; [unrolled: 3-line block ×4, first 2 shown]
	ds_store_2addr_b64 v40, v[42:43], v[44:45] offset0:96 offset1:177
	ds_store_2addr_b64 v41, v[142:143], v[144:145] offset0:110 offset1:191
	;; [unrolled: 1-line block ×3, first 2 shown]
	ds_store_b64 v136, v[48:49]
	ds_store_b64 v136, v[150:151] offset:2160
	ds_store_b64 v136, v[66:67] offset:4320
	;; [unrolled: 1-line block ×11, first 2 shown]
	s_waitcnt lgkmcnt(0)
	s_barrier
	buffer_gl0_inv
	s_and_saveexec_b32 s0, vcc_lo
	s_cbranch_execz .LBB0_15
; %bb.14:
	v_add_co_u32 v40, vcc_lo, 0x3000, v146
	v_add_co_ci_u32_e32 v41, vcc_lo, 0, v147, vcc_lo
	v_add_co_u32 v42, vcc_lo, 0x3000, v138
	v_add_co_ci_u32_e32 v43, vcc_lo, 0, v139, vcc_lo
	v_add_co_u32 v44, vcc_lo, 0x3200, v148
	v_lshlrev_b32_e32 v136, 1, v173
	v_add_co_ci_u32_e32 v45, vcc_lo, 0, v149, vcc_lo
	v_add_co_u32 v46, vcc_lo, 0x3000, v148
	v_add_co_ci_u32_e32 v47, vcc_lo, 0, v149, vcc_lo
	v_add_co_u32 v52, vcc_lo, 0x3200, v146
	v_lshlrev_b64 v[56:57], 4, v[136:137]
	v_add_co_ci_u32_e32 v53, vcc_lo, 0, v147, vcc_lo
	v_add_co_u32 v54, vcc_lo, 0x3200, v138
	v_add_co_ci_u32_e32 v55, vcc_lo, 0, v139, vcc_lo
	v_lshlrev_b32_e32 v136, 1, v179
	s_clause 0x5
	global_load_b128 v[48:51], v[46:47], off offset:512
	global_load_b128 v[44:47], v[44:45], off offset:16
	;; [unrolled: 1-line block ×6, first 2 shown]
	v_add_co_u32 v54, vcc_lo, s8, v56
	v_add_co_ci_u32_e32 v55, vcc_lo, s9, v57, vcc_lo
	v_lshlrev_b64 v[40:41], 4, v[136:137]
	s_delay_alu instid0(VALU_DEP_3) | instskip(NEXT) | instid1(VALU_DEP_3)
	v_add_co_u32 v42, vcc_lo, 0x3200, v54
	v_add_co_ci_u32_e32 v43, vcc_lo, 0, v55, vcc_lo
	v_add_co_u32 v54, vcc_lo, 0x3000, v54
	v_add_co_ci_u32_e32 v55, vcc_lo, 0, v55, vcc_lo
	v_lshlrev_b32_e32 v136, 1, v176
	v_add_co_u32 v58, vcc_lo, s8, v40
	v_add_co_ci_u32_e32 v59, vcc_lo, s9, v41, vcc_lo
	s_delay_alu instid0(VALU_DEP_3)
	v_lshlrev_b64 v[52:53], 4, v[136:137]
	s_clause 0x1
	global_load_b128 v[64:67], v[54:55], off offset:512
	global_load_b128 v[40:43], v[42:43], off offset:16
	v_add_co_u32 v54, vcc_lo, 0x3000, v58
	v_add_co_ci_u32_e32 v55, vcc_lo, 0, v59, vcc_lo
	v_add_co_u32 v58, vcc_lo, 0x3200, v58
	v_add_co_ci_u32_e32 v59, vcc_lo, 0, v59, vcc_lo
	v_lshlrev_b32_e32 v136, 1, v172
	v_add_co_u32 v62, vcc_lo, s8, v52
	v_add_co_ci_u32_e32 v63, vcc_lo, s9, v53, vcc_lo
	s_delay_alu instid0(VALU_DEP_3)
	v_lshlrev_b64 v[56:57], 4, v[136:137]
	s_clause 0x1
	global_load_b128 v[138:141], v[54:55], off offset:512
	global_load_b128 v[52:55], v[58:59], off offset:16
	v_add_co_u32 v58, vcc_lo, 0x3200, v62
	v_add_co_ci_u32_e32 v59, vcc_lo, 0, v63, vcc_lo
	v_lshlrev_b32_e32 v136, 1, v178
	v_add_co_u32 v62, vcc_lo, 0x3000, v62
	v_add_co_ci_u32_e32 v63, vcc_lo, 0, v63, vcc_lo
	v_add_co_u32 v96, vcc_lo, s8, v56
	s_delay_alu instid0(VALU_DEP_4)
	v_lshlrev_b64 v[60:61], 4, v[136:137]
	v_add_co_ci_u32_e32 v97, vcc_lo, s9, v57, vcc_lo
	s_clause 0x1
	global_load_b128 v[68:71], v[62:63], off offset:512
	global_load_b128 v[72:75], v[58:59], off offset:16
	v_add_co_u32 v58, vcc_lo, 0x3200, v96
	v_add_co_ci_u32_e32 v59, vcc_lo, 0, v97, vcc_lo
	v_add_co_u32 v98, vcc_lo, s8, v60
	v_lshlrev_b32_e32 v136, 1, v175
	v_add_co_ci_u32_e32 v99, vcc_lo, s9, v61, vcc_lo
	v_add_co_u32 v60, vcc_lo, 0x3000, v96
	v_add_co_ci_u32_e32 v61, vcc_lo, 0, v97, vcc_lo
	s_delay_alu instid0(VALU_DEP_4)
	v_lshlrev_b64 v[56:57], 4, v[136:137]
	v_add_co_u32 v62, vcc_lo, 0x3000, v98
	v_add_co_ci_u32_e32 v63, vcc_lo, 0, v99, vcc_lo
	v_add_co_u32 v96, vcc_lo, 0x3200, v98
	v_add_co_ci_u32_e32 v97, vcc_lo, 0, v99, vcc_lo
	s_clause 0x1
	global_load_b128 v[142:145], v[60:61], off offset:512
	global_load_b128 v[146:149], v[58:59], off offset:16
	v_add_co_u32 v58, vcc_lo, s8, v56
	v_lshlrev_b32_e32 v136, 1, v171
	v_add_co_ci_u32_e32 v59, vcc_lo, s9, v57, vcc_lo
	s_delay_alu instid0(VALU_DEP_3) | instskip(NEXT) | instid1(VALU_DEP_3)
	v_add_co_u32 v60, vcc_lo, 0x3200, v58
	v_lshlrev_b64 v[56:57], 4, v[136:137]
	s_delay_alu instid0(VALU_DEP_3) | instskip(SKIP_2) | instid1(VALU_DEP_4)
	v_add_co_ci_u32_e32 v61, vcc_lo, 0, v59, vcc_lo
	v_add_co_u32 v58, vcc_lo, 0x3000, v58
	v_add_co_ci_u32_e32 v59, vcc_lo, 0, v59, vcc_lo
	v_add_co_u32 v98, vcc_lo, s8, v56
	s_clause 0x1
	global_load_b128 v[150:153], v[62:63], off offset:512
	global_load_b128 v[154:157], v[96:97], off offset:16
	v_add_co_ci_u32_e32 v99, vcc_lo, s9, v57, vcc_lo
	s_clause 0x1
	global_load_b128 v[56:59], v[58:59], off offset:512
	global_load_b128 v[60:63], v[60:61], off offset:16
	v_add_co_u32 v96, vcc_lo, 0x3000, v98
	v_add_co_ci_u32_e32 v97, vcc_lo, 0, v99, vcc_lo
	v_add_co_u32 v98, vcc_lo, 0x3200, v98
	v_add_co_ci_u32_e32 v99, vcc_lo, 0, v99, vcc_lo
	s_clause 0x1
	global_load_b128 v[158:161], v[96:97], off offset:512
	global_load_b128 v[162:165], v[98:99], off offset:16
	v_mul_i32_i24_e32 v130, 0xffffffb8, v174
	v_mul_i32_i24_e32 v131, 0xffffffb8, v177
	v_mul_lo_u32 v179, s3, v134
	v_mul_lo_u32 v212, s2, v135
	v_mad_u64_u32 v[112:113], null, s2, v134, 0
	ds_load_2addr_b64 v[134:137], v198 offset0:50 offset1:131
	ds_load_2addr_b64 v[166:169], v199 offset0:92 offset1:173
	;; [unrolled: 1-line block ×4, first 2 shown]
	ds_load_b64 v[108:109], v197
	ds_load_b64 v[106:107], v196
	;; [unrolled: 1-line block ×4, first 2 shown]
	ds_load_2addr_b64 v[192:195], v189 offset0:110 offset1:191
	ds_load_2addr_b64 v[196:199], v190 offset0:152 offset1:233
	ds_load_2addr_b64 v[200:203], v185 offset0:76 offset1:157
	ds_load_2addr_b64 v[204:207], v186 offset0:118 offset1:199
	ds_load_2addr_b64 v[208:211], v183 offset0:42 offset1:123
	ds_load_2addr_b64 v[183:186], v184 offset0:84 offset1:165
	ds_load_b64 v[104:105], v191
	ds_load_b64 v[98:99], v188
	;; [unrolled: 1-line block ×4, first 2 shown]
	v_add_nc_u32_e32 v188, 0xa2, v170
	v_add_nc_u32_e32 v187, 0x51, v170
	v_mul_hi_u32 v182, 0x50e89cc3, v170
	v_add_nc_u32_e32 v189, 0xf3, v170
	v_add_nc_u32_e32 v181, v181, v131
	v_mul_hi_u32 v191, 0x50e89cc3, v188
	v_mul_hi_u32 v190, 0x50e89cc3, v187
	v_add_nc_u32_e32 v180, v180, v130
	v_mul_hi_u32 v213, 0x50e89cc3, v189
	v_add3_u32 v113, v113, v212, v179
	v_lshrrev_b32_e32 v182, 8, v182
	v_lshlrev_b64 v[130:131], 4, v[132:133]
	ds_load_b64 v[132:133], v181
	ds_load_b64 v[179:180], v180
	v_lshrrev_b32_e32 v191, 8, v191
	v_lshrrev_b32_e32 v190, 8, v190
	v_mul_u32_u24_e32 v181, 0x32a, v182
	v_lshrrev_b32_e32 v212, 8, v213
	v_lshlrev_b64 v[112:113], 4, v[112:113]
	v_mul_u32_u24_e32 v214, 0x32a, v191
	v_mul_u32_u24_e32 v213, 0x32a, v190
	v_sub_nc_u32_e32 v218, v170, v181
	v_mul_u32_u24_e32 v215, 0x32a, v212
	s_delay_alu instid0(VALU_DEP_4) | instskip(NEXT) | instid1(VALU_DEP_4)
	v_sub_nc_u32_e32 v214, v188, v214
	v_sub_nc_u32_e32 v213, v187, v213
	v_add_co_u32 v112, vcc_lo, s6, v112
	v_add_nc_u32_e32 v228, 0x654, v218
	s_delay_alu instid0(VALU_DEP_4) | instskip(SKIP_3) | instid1(VALU_DEP_4)
	v_mad_u32_u24 v230, 0x97e, v191, v214
	v_add_co_ci_u32_e32 v113, vcc_lo, s7, v113, vcc_lo
	v_sub_nc_u32_e32 v189, v189, v215
	v_mad_u32_u24 v229, 0x97e, v190, v213
	v_add_nc_u32_e32 v233, 0x32a, v230
	v_add_nc_u32_e32 v234, 0x654, v230
	v_mad_u64_u32 v[181:182], null, s12, v218, 0
	v_add_co_u32 v112, vcc_lo, v112, v130
	s_delay_alu instid0(VALU_DEP_4) | instskip(SKIP_3) | instid1(VALU_DEP_3)
	v_mad_u64_u32 v[221:222], null, s12, v233, 0
	v_add_nc_u32_e32 v227, 0x32a, v218
	v_mad_u64_u32 v[187:188], null, s12, v228, 0
	v_add_co_ci_u32_e32 v113, vcc_lo, v113, v131, vcc_lo
	v_mad_u64_u32 v[130:131], null, s12, v227, 0
	v_mad_u32_u24 v241, 0x97e, v212, v189
	v_mad_u64_u32 v[189:190], null, s12, v229, 0
	v_add_nc_u32_e32 v232, 0x654, v229
	v_mad_u64_u32 v[223:224], null, s12, v234, 0
	v_add_nc_u32_e32 v231, 0x32a, v229
	v_mad_u64_u32 v[212:213], null, s12, v230, 0
	s_delay_alu instid0(VALU_DEP_4)
	v_mad_u64_u32 v[219:220], null, s12, v232, 0
	s_waitcnt lgkmcnt(6)
	v_mad_u64_u32 v[216:217], null, s13, v218, v[182:183]
	v_mov_b32_e32 v182, v188
	v_mad_u64_u32 v[217:218], null, s12, v231, 0
	s_waitcnt lgkmcnt(1)
	v_mad_u64_u32 v[225:226], null, s13, v227, v[131:132]
	v_mov_b32_e32 v131, v190
	v_mad_u64_u32 v[214:215], null, s12, v241, 0
	v_mad_u64_u32 v[190:191], null, s13, v228, v[182:183]
	v_mov_b32_e32 v188, v213
	s_delay_alu instid0(VALU_DEP_4)
	v_mad_u64_u32 v[226:227], null, s13, v229, v[131:132]
	v_mov_b32_e32 v213, v220
	v_mov_b32_e32 v182, v216
	;; [unrolled: 1-line block ×3, first 2 shown]
	v_dual_mov_b32 v191, v218 :: v_dual_mov_b32 v218, v224
	v_mad_u64_u32 v[227:228], null, s13, v230, v[188:189]
	v_mad_u64_u32 v[228:229], null, s13, v232, v[213:214]
	v_mov_b32_e32 v188, v190
	v_mad_u64_u32 v[229:230], null, s13, v233, v[216:217]
	v_mov_b32_e32 v131, v225
	v_mad_u64_u32 v[224:225], null, s13, v231, v[191:192]
	v_mad_u64_u32 v[230:231], null, s13, v234, v[218:219]
	v_dual_mov_b32 v190, v226 :: v_dual_mov_b32 v213, v227
	v_mov_b32_e32 v220, v228
	v_lshlrev_b64 v[181:182], 4, v[181:182]
	v_lshlrev_b64 v[130:131], 4, v[130:131]
	;; [unrolled: 1-line block ×4, first 2 shown]
	v_mov_b32_e32 v218, v224
	v_lshlrev_b64 v[212:213], 4, v[212:213]
	v_add_co_u32 v181, vcc_lo, v112, v181
	v_add_co_ci_u32_e32 v182, vcc_lo, v113, v182, vcc_lo
	v_add_co_u32 v130, vcc_lo, v112, v130
	v_add_co_ci_u32_e32 v131, vcc_lo, v113, v131, vcc_lo
	;; [unrolled: 2-line block ×3, first 2 shown]
	v_lshlrev_b64 v[216:217], 4, v[217:218]
	v_add_co_u32 v189, vcc_lo, v112, v189
	v_add_co_ci_u32_e32 v190, vcc_lo, v113, v190, vcc_lo
	v_lshlrev_b64 v[218:219], 4, v[219:220]
	v_mov_b32_e32 v222, v229
	v_mov_b32_e32 v224, v230
	s_waitcnt vmcnt(19)
	v_mul_f64 v[235:236], v[0:1], v[50:51]
	v_mul_f64 v[50:51], v[200:201], v[50:51]
	s_waitcnt vmcnt(17)
	v_mul_f64 v[225:226], v[38:39], v[116:117]
	v_mul_f64 v[116:117], v[210:211], v[116:117]
	;; [unrolled: 3-line block ×3, first 2 shown]
	v_mul_f64 v[227:228], v[34:35], v[120:121]
	v_mul_f64 v[120:121], v[185:186], v[120:121]
	s_waitcnt vmcnt(14)
	v_mul_f64 v[233:234], v[32:33], v[128:129]
	v_mul_f64 v[128:129], v[183:184], v[128:129]
	;; [unrolled: 1-line block ×4, first 2 shown]
	s_waitcnt vmcnt(13)
	v_mul_f64 v[239:240], v[30:31], v[66:67]
	v_mul_f64 v[66:67], v[136:137], v[66:67]
	v_fma_f64 v[200:201], v[48:49], v[200:201], -v[235:236]
	v_fma_f64 v[0:1], v[0:1], v[48:49], v[50:51]
	v_fma_f64 v[210:211], v[114:115], v[210:211], -v[225:226]
	v_fma_f64 v[38:39], v[38:39], v[114:115], v[116:117]
	v_fma_f64 v[116:117], v[122:123], v[208:209], -v[231:232]
	s_waitcnt vmcnt(11)
	v_mul_f64 v[208:209], v[28:29], v[140:141]
	v_fma_f64 v[36:37], v[36:37], v[122:123], v[124:125]
	v_mul_f64 v[122:123], v[134:135], v[140:141]
	v_mul_f64 v[114:115], v[26:27], v[42:43]
	;; [unrolled: 1-line block ×3, first 2 shown]
	s_waitcnt vmcnt(10)
	v_mul_f64 v[124:125], v[24:25], v[54:55]
	v_mul_f64 v[54:55], v[166:167], v[54:55]
	v_fma_f64 v[185:186], v[118:119], v[185:186], -v[227:228]
	v_fma_f64 v[34:35], v[34:35], v[118:119], v[120:121]
	v_fma_f64 v[120:121], v[126:127], v[183:184], -v[233:234]
	v_fma_f64 v[32:33], v[32:33], v[126:127], v[128:129]
	s_waitcnt vmcnt(9)
	v_mul_f64 v[140:141], v[18:19], v[70:71]
	s_waitcnt vmcnt(8)
	v_mul_f64 v[118:119], v[22:23], v[74:75]
	v_mul_f64 v[70:71], v[173:174], v[70:71]
	v_fma_f64 v[4:5], v[4:5], v[44:45], v[46:47]
	v_mul_f64 v[74:75], v[177:178], v[74:75]
	v_fma_f64 v[136:137], v[64:65], v[136:137], -v[239:240]
	v_fma_f64 v[30:31], v[30:31], v[64:65], v[66:67]
	s_waitcnt vmcnt(7)
	v_mul_f64 v[183:184], v[16:17], v[144:145]
	s_waitcnt vmcnt(6)
	v_mul_f64 v[126:127], v[20:21], v[148:149]
	v_mul_f64 v[128:129], v[171:172], v[144:145]
	;; [unrolled: 1-line block ×3, first 2 shown]
	v_fma_f64 v[66:67], v[138:139], v[134:135], -v[208:209]
	v_fma_f64 v[28:29], v[28:29], v[138:139], v[122:123]
	v_fma_f64 v[114:115], v[40:41], v[168:169], -v[114:115]
	v_fma_f64 v[40:41], v[26:27], v[40:41], v[42:43]
	;; [unrolled: 2-line block ×3, first 2 shown]
	v_add_f64 v[124:125], v[210:211], v[185:186]
	v_fma_f64 v[24:25], v[68:69], v[173:174], -v[140:141]
	v_fma_f64 v[54:55], v[72:73], v[177:178], -v[118:119]
	s_waitcnt vmcnt(5)
	v_mul_f64 v[148:149], v[10:11], v[152:153]
	v_mul_f64 v[50:51], v[194:195], v[152:153]
	v_fma_f64 v[152:153], v[44:45], v[204:205], -v[237:238]
	s_waitcnt vmcnt(4)
	v_mul_f64 v[44:45], v[198:199], v[156:157]
	s_waitcnt vmcnt(3)
	v_mul_f64 v[46:47], v[8:9], v[58:59]
	s_waitcnt vmcnt(2)
	v_mul_f64 v[64:65], v[12:13], v[62:63]
	v_mul_f64 v[58:59], v[192:193], v[58:59]
	v_mul_f64 v[62:63], v[196:197], v[62:63]
	;; [unrolled: 1-line block ×3, first 2 shown]
	v_fma_f64 v[18:19], v[18:19], v[68:69], v[70:71]
	v_fma_f64 v[22:23], v[22:23], v[72:73], v[74:75]
	v_add_f64 v[74:75], v[0:1], v[4:5]
	v_add_f64 v[140:141], v[38:39], v[34:35]
	v_add_f64 v[72:73], v[0:1], -v[4:5]
	s_waitcnt vmcnt(1)
	v_mul_f64 v[134:135], v[2:3], v[160:161]
	s_waitcnt vmcnt(0)
	v_mul_f64 v[122:123], v[6:7], v[164:165]
	v_mul_f64 v[138:139], v[202:203], v[160:161]
	v_mul_f64 v[160:161], v[206:207], v[164:165]
	v_add_f64 v[0:1], v[94:95], v[0:1]
	v_add_co_u32 v156, vcc_lo, v112, v212
	v_fma_f64 v[26:27], v[142:143], v[171:172], -v[183:184]
	v_fma_f64 v[68:69], v[146:147], v[175:176], -v[126:127]
	v_fma_f64 v[16:17], v[16:17], v[142:143], v[128:129]
	v_fma_f64 v[20:21], v[20:21], v[146:147], v[144:145]
	v_add_f64 v[144:145], v[116:117], v[120:121]
	v_add_f64 v[126:127], v[38:39], -v[34:35]
	v_add_f64 v[38:39], v[92:93], v[38:39]
	v_add_f64 v[146:147], v[36:37], -v[32:33]
	s_waitcnt lgkmcnt(0)
	v_add_f64 v[128:129], v[179:180], v[210:211]
	v_add_f64 v[166:167], v[66:67], -v[42:43]
	v_add_f64 v[142:143], v[210:211], -v[185:186]
	v_add_f64 v[164:165], v[28:29], v[52:53]
	v_add_co_ci_u32_e32 v157, vcc_lo, v113, v213, vcc_lo
	v_add_co_u32 v204, vcc_lo, v112, v216
	v_add_f64 v[168:169], v[24:25], v[54:55]
	v_fma_f64 v[70:71], v[150:151], v[194:195], -v[148:149]
	v_fma_f64 v[10:11], v[10:11], v[150:151], v[50:51]
	v_add_f64 v[150:151], v[36:37], v[32:33]
	v_fma_f64 v[14:15], v[14:15], v[154:155], v[44:45]
	v_add_f64 v[44:45], v[200:201], v[152:153]
	v_fma_f64 v[46:47], v[56:57], v[192:193], -v[46:47]
	v_fma_f64 v[56:57], v[8:9], v[56:57], v[58:59]
	v_fma_f64 v[12:13], v[12:13], v[60:61], v[62:63]
	v_fma_f64 v[48:49], v[154:155], v[198:199], -v[48:49]
	v_add_f64 v[148:149], v[110:111], v[116:117]
	v_fma_f64 v[154:155], v[60:61], v[196:197], -v[64:65]
	v_add_f64 v[50:51], v[132:133], v[200:201]
	v_add_f64 v[116:117], v[116:117], -v[120:121]
	v_add_f64 v[36:37], v[90:91], v[36:37]
	v_fma_f64 v[58:59], v[158:159], v[202:203], -v[134:135]
	v_fma_f64 v[122:123], v[162:163], v[206:207], -v[122:123]
	v_fma_f64 v[2:3], v[2:3], v[158:159], v[138:139]
	v_fma_f64 v[134:135], v[6:7], v[162:163], v[160:161]
	v_add_f64 v[6:7], v[136:137], v[114:115]
	v_add_f64 v[158:159], v[66:67], v[42:43]
	;; [unrolled: 1-line block ×5, first 2 shown]
	v_fma_f64 v[74:75], v[74:75], -0.5, v[94:95]
	v_fma_f64 v[94:95], v[124:125], -0.5, v[179:180]
	;; [unrolled: 1-line block ×4, first 2 shown]
	v_add_f64 v[64:65], v[88:89], v[30:31]
	v_add_f64 v[118:119], v[200:201], -v[152:153]
	v_add_f64 v[60:61], v[108:109], v[136:137]
	v_add_f64 v[62:63], v[30:31], v[40:41]
	;; [unrolled: 1-line block ×3, first 2 shown]
	v_add_f64 v[160:161], v[28:29], -v[52:53]
	v_add_f64 v[171:172], v[18:19], -v[22:23]
	;; [unrolled: 1-line block ×3, first 2 shown]
	v_add_f64 v[195:196], v[16:17], v[20:21]
	v_add_f64 v[24:25], v[0:1], v[4:5]
	;; [unrolled: 1-line block ×4, first 2 shown]
	v_fma_f64 v[102:103], v[168:169], -0.5, v[102:103]
	v_fma_f64 v[90:91], v[150:151], -0.5, v[90:91]
	v_add_f64 v[201:202], v[10:11], -v[14:15]
	v_fma_f64 v[44:45], v[44:45], -0.5, v[132:133]
	v_add_f64 v[208:209], v[10:11], v[14:15]
	v_add_f64 v[193:194], v[100:101], v[26:27]
	;; [unrolled: 1-line block ×4, first 2 shown]
	v_add_f64 v[210:211], v[70:71], -v[48:49]
	v_add_f64 v[70:71], v[80:81], v[10:11]
	v_add_f64 v[10:11], v[148:149], v[120:121]
	;; [unrolled: 1-line block ×4, first 2 shown]
	v_add_f64 v[140:141], v[46:47], -v[154:155]
	v_add_f64 v[144:145], v[58:59], v[122:123]
	v_add_f64 v[197:198], v[26:27], -v[68:69]
	v_add_f64 v[150:151], v[2:3], v[134:135]
	v_fma_f64 v[108:109], v[6:7], -0.5, v[108:109]
	v_add_f64 v[26:27], v[50:51], v[152:153]
	v_add_f64 v[6:7], v[162:163], v[42:43]
	;; [unrolled: 1-line block ×4, first 2 shown]
	v_add_f64 v[138:139], v[30:31], -v[40:41]
	v_add_f64 v[30:31], v[128:129], v[185:186]
	v_fma_f64 v[54:55], v[146:147], s[10:11], v[110:111]
	v_fma_f64 v[50:51], v[146:147], s[4:5], v[110:111]
	v_add_f64 v[124:125], v[56:57], -v[12:13]
	v_add_f64 v[148:149], v[78:79], v[56:57]
	v_add_f64 v[179:180], v[96:97], v[58:59]
	v_add_f64 v[185:186], v[58:59], -v[122:123]
	v_fma_f64 v[58:59], v[126:127], s[10:11], v[94:95]
	v_fma_f64 v[56:57], v[142:143], s[4:5], v[92:93]
	v_add_f64 v[0:1], v[64:65], v[40:41]
	v_fma_f64 v[66:67], v[126:127], s[4:5], v[94:95]
	v_fma_f64 v[64:65], v[142:143], s[10:11], v[92:93]
	v_add_co_ci_u32_e32 v205, vcc_lo, v113, v217, vcc_lo
	v_add_f64 v[42:43], v[206:207], v[48:49]
	v_add_f64 v[128:129], v[98:99], v[46:47]
	v_fma_f64 v[52:53], v[116:117], s[4:5], v[90:91]
	v_fma_f64 v[48:49], v[116:117], s[10:11], v[90:91]
	v_add_f64 v[152:153], v[2:3], -v[134:135]
	v_add_f64 v[216:217], v[76:77], v[2:3]
	v_add_f64 v[2:3], v[60:61], v[114:115]
	v_fma_f64 v[116:117], v[132:133], -0.5, v[78:79]
	v_fma_f64 v[88:89], v[62:63], -0.5, v[88:89]
	;; [unrolled: 1-line block ×3, first 2 shown]
	v_fma_f64 v[46:47], v[72:73], s[4:5], v[44:45]
	v_fma_f64 v[62:63], v[72:73], s[10:11], v[44:45]
	v_fma_f64 v[110:111], v[120:121], -0.5, v[98:99]
	v_fma_f64 v[44:45], v[118:119], s[10:11], v[74:75]
	v_fma_f64 v[60:61], v[118:119], s[4:5], v[74:75]
	v_fma_f64 v[120:121], v[144:145], -0.5, v[96:97]
	v_add_f64 v[191:192], v[16:17], -v[20:21]
	v_fma_f64 v[118:119], v[150:151], -0.5, v[76:77]
	v_add_f64 v[16:17], v[82:83], v[16:17]
	v_fma_f64 v[86:87], v[164:165], -0.5, v[86:87]
	v_fma_f64 v[100:101], v[183:184], -0.5, v[100:101]
	v_add_co_u32 v212, vcc_lo, v112, v218
	v_add_co_ci_u32_e32 v213, vcc_lo, v113, v219, vcc_lo
	v_add_f64 v[136:137], v[136:137], -v[114:115]
	v_fma_f64 v[114:115], v[195:196], -0.5, v[82:83]
	global_store_b128 v[181:182], v[8:11], off
	v_fma_f64 v[78:79], v[171:172], s[4:5], v[102:103]
	v_fma_f64 v[82:83], v[171:172], s[10:11], v[102:103]
	s_clause 0x3
	global_store_b128 v[130:131], v[52:55], off
	global_store_b128 v[187:188], v[48:51], off
	;; [unrolled: 1-line block ×4, first 2 shown]
	v_add_nc_u32_e32 v103, 0x144, v170
	s_clause 0x1
	global_store_b128 v[212:213], v[64:67], off
	global_store_b128 v[156:157], v[24:27], off
	v_add_nc_u32_e32 v27, 0x32a, v241
	v_fma_f64 v[28:29], v[140:141], s[10:11], v[116:117]
	v_mul_hi_u32 v66, 0x50e89cc3, v103
	v_lshlrev_b64 v[24:25], 4, v[221:222]
	v_add_f64 v[74:75], v[179:180], v[122:123]
	v_mad_u64_u32 v[64:65], null, s12, v27, 0
	v_add_f64 v[72:73], v[216:217], v[134:135]
	v_fma_f64 v[94:95], v[201:202], s[4:5], v[104:105]
	v_fma_f64 v[98:99], v[201:202], s[10:11], v[104:105]
	;; [unrolled: 1-line block ×4, first 2 shown]
	v_mov_b32_e32 v26, v215
	v_lshrrev_b32_e32 v104, 8, v66
	v_lshlrev_b64 v[66:67], 4, v[223:224]
	v_add_co_u32 v24, vcc_lo, v112, v24
	v_add_f64 v[36:37], v[16:17], v[20:21]
	v_fma_f64 v[16:17], v[166:167], s[10:11], v[86:87]
	v_fma_f64 v[20:21], v[166:167], s[4:5], v[86:87]
	;; [unrolled: 1-line block ×4, first 2 shown]
	v_add_co_ci_u32_e32 v25, vcc_lo, v113, v25, vcc_lo
	v_mad_u64_u32 v[100:101], null, s13, v241, v[26:27]
	v_mov_b32_e32 v26, v65
	v_mul_u32_u24_e32 v105, 0x32a, v104
	v_add_co_u32 v65, vcc_lo, v112, v66
	v_add_co_ci_u32_e32 v66, vcc_lo, v113, v67, vcc_lo
	s_delay_alu instid0(VALU_DEP_4) | instskip(NEXT) | instid1(VALU_DEP_4)
	v_mad_u64_u32 v[101:102], null, s13, v27, v[26:27]
	v_sub_nc_u32_e32 v26, v103, v105
	s_clause 0x1
	global_store_b128 v[24:25], v[60:63], off
	global_store_b128 v[65:66], v[44:47], off
	v_add_nc_u32_e32 v62, 0x654, v241
	v_add_nc_u32_e32 v67, 0x195, v170
	v_mov_b32_e32 v215, v100
	v_mad_u32_u24 v66, 0x97e, v104, v26
	v_mov_b32_e32 v65, v101
	v_mad_u64_u32 v[26:27], null, s12, v62, 0
	v_mul_hi_u32 v63, 0x50e89cc3, v67
	s_delay_alu instid0(VALU_DEP_4)
	v_mad_u64_u32 v[44:45], null, s12, v66, 0
	v_lshlrev_b64 v[24:25], 4, v[214:215]
	v_lshlrev_b64 v[46:47], 4, v[64:65]
	v_add_nc_u32_e32 v64, 0x32a, v66
	v_mad_u64_u32 v[60:61], null, s13, v62, v[27:28]
	v_lshrrev_b32_e32 v65, 8, v63
	v_add_co_u32 v24, vcc_lo, v112, v24
	v_mad_u64_u32 v[61:62], null, s13, v66, v[45:46]
	v_add_co_ci_u32_e32 v25, vcc_lo, v113, v25, vcc_lo
	v_mad_u64_u32 v[62:63], null, s12, v64, 0
	v_add_co_u32 v46, vcc_lo, v112, v46
	v_add_co_ci_u32_e32 v47, vcc_lo, v113, v47, vcc_lo
	v_mul_u32_u24_e32 v100, 0x32a, v65
	v_mov_b32_e32 v27, v60
	v_fma_f64 v[106:107], v[158:159], -0.5, v[106:107]
	v_add_f64 v[38:39], v[193:194], v[68:69]
	v_fma_f64 v[158:159], v[208:209], -0.5, v[80:81]
	v_add_f64 v[40:41], v[70:71], v[14:15]
	v_add_f64 v[70:71], v[128:129], v[154:155]
	v_add_f64 v[68:69], v[148:149], v[12:13]
	v_fma_f64 v[50:51], v[124:125], s[10:11], v[110:111]
	v_fma_f64 v[48:49], v[140:141], s[4:5], v[116:117]
	v_fma_f64 v[54:55], v[152:153], s[4:5], v[120:121]
	v_fma_f64 v[52:53], v[185:186], s[10:11], v[118:119]
	s_clause 0x1
	global_store_b128 v[24:25], v[72:75], off
	global_store_b128 v[46:47], v[56:59], off
	v_sub_nc_u32_e32 v46, v67, v100
	v_lshlrev_b64 v[24:25], 4, v[26:27]
	v_dual_mov_b32 v26, v63 :: v_dual_mov_b32 v45, v61
	v_add_nc_u32_e32 v61, 0x654, v66
	s_delay_alu instid0(VALU_DEP_4) | instskip(SKIP_1) | instid1(VALU_DEP_4)
	v_mad_u32_u24 v65, 0x97e, v65, v46
	v_add_f64 v[175:176], v[18:19], v[22:23]
	v_mad_u64_u32 v[46:47], null, s13, v64, v[26:27]
	v_lshlrev_b64 v[44:45], 4, v[44:45]
	s_delay_alu instid0(VALU_DEP_4)
	v_mad_u64_u32 v[56:57], null, s12, v65, 0
	v_mad_u64_u32 v[26:27], null, s12, v61, 0
	v_add_co_u32 v24, vcc_lo, v112, v24
	v_mov_b32_e32 v63, v46
	v_add_co_ci_u32_e32 v25, vcc_lo, v113, v25, vcc_lo
	v_mov_b32_e32 v46, v57
	v_add_co_u32 v44, vcc_lo, v112, v44
	s_delay_alu instid0(VALU_DEP_4)
	v_lshlrev_b64 v[57:58], 4, v[62:63]
	v_add_nc_u32_e32 v64, 0x1e6, v170
	v_add_co_ci_u32_e32 v45, vcc_lo, v113, v45, vcc_lo
	v_mad_u64_u32 v[59:60], null, s13, v61, v[27:28]
	v_mad_u64_u32 v[60:61], null, s13, v65, v[46:47]
	v_add_co_u32 v46, vcc_lo, v112, v57
	v_add_nc_u32_e32 v63, 0x32a, v65
	v_add_co_ci_u32_e32 v47, vcc_lo, v113, v58, vcc_lo
	v_mul_hi_u32 v58, 0x50e89cc3, v64
	v_fma_f64 v[30:31], v[124:125], s[4:5], v[110:111]
	s_delay_alu instid0(VALU_DEP_4)
	v_mad_u64_u32 v[61:62], null, s12, v63, 0
	v_mov_b32_e32 v27, v59
	v_fma_f64 v[96:97], v[210:211], s[4:5], v[158:159]
	s_clause 0x2
	global_store_b128 v[24:25], v[52:55], off
	global_store_b128 v[44:45], v[68:71], off
	;; [unrolled: 1-line block ×3, first 2 shown]
	v_lshrrev_b32_e32 v48, 8, v58
	v_lshlrev_b64 v[24:25], 4, v[26:27]
	v_mov_b32_e32 v26, v62
	v_dual_mov_b32 v57, v60 :: v_dual_add_nc_u32 v52, 0x654, v65
	s_delay_alu instid0(VALU_DEP_4) | instskip(SKIP_1) | instid1(VALU_DEP_4)
	v_mul_u32_u24_e32 v49, 0x32a, v48
	v_add_f64 v[18:19], v[84:85], v[18:19]
	v_mad_u64_u32 v[46:47], null, s13, v63, v[26:27]
	s_delay_alu instid0(VALU_DEP_4) | instskip(NEXT) | instid1(VALU_DEP_4)
	v_mad_u64_u32 v[26:27], null, s12, v52, 0
	v_sub_nc_u32_e32 v47, v64, v49
	v_fma_f64 v[84:85], v[175:176], -0.5, v[84:85]
	v_lshlrev_b64 v[44:45], 4, v[56:57]
	v_dual_mov_b32 v62, v46 :: v_dual_add_nc_u32 v57, 0x237, v170
	s_delay_alu instid0(VALU_DEP_4) | instskip(SKIP_2) | instid1(VALU_DEP_3)
	v_mad_u32_u24 v55, 0x97e, v48, v47
	v_add_co_u32 v24, vcc_lo, v112, v24
	v_add_co_ci_u32_e32 v25, vcc_lo, v113, v25, vcc_lo
	v_mad_u64_u32 v[48:49], null, s12, v55, 0
	v_lshlrev_b64 v[46:47], 4, v[61:62]
	v_mad_u64_u32 v[50:51], null, s13, v52, v[27:28]
	v_add_nc_u32_e32 v56, 0x32a, v55
	v_add_co_u32 v44, vcc_lo, v112, v44
	v_mov_b32_e32 v27, v49
	v_mul_hi_u32 v49, 0x50e89cc3, v57
	v_add_co_ci_u32_e32 v45, vcc_lo, v113, v45, vcc_lo
	v_fma_f64 v[92:93], v[210:211], s[10:11], v[158:159]
	v_add_co_u32 v46, vcc_lo, v112, v46
	v_mad_u64_u32 v[51:52], null, s12, v56, 0
	v_fma_f64 v[8:9], v[136:137], s[10:11], v[88:89]
	v_fma_f64 v[12:13], v[136:137], s[4:5], v[88:89]
	;; [unrolled: 1-line block ×3, first 2 shown]
	v_add_co_ci_u32_e32 v47, vcc_lo, v113, v47, vcc_lo
	v_mad_u64_u32 v[53:54], null, s13, v55, v[27:28]
	v_mov_b32_e32 v27, v50
	s_clause 0x2
	global_store_b128 v[24:25], v[28:31], off
	global_store_b128 v[44:45], v[40:43], off
	;; [unrolled: 1-line block ×3, first 2 shown]
	v_lshrrev_b32_e32 v30, 8, v49
	v_add_nc_u32_e32 v46, 0x654, v55
	v_add_f64 v[32:33], v[18:19], v[22:23]
	v_lshlrev_b64 v[24:25], 4, v[26:27]
	v_mov_b32_e32 v26, v52
	v_mul_u32_u24_e32 v31, 0x32a, v30
	v_mov_b32_e32 v49, v53
	v_fma_f64 v[76:77], v[177:178], s[10:11], v[84:85]
	v_fma_f64 v[80:81], v[177:178], s[4:5], v[84:85]
	v_mad_u64_u32 v[27:28], null, s13, v56, v[26:27]
	v_sub_nc_u32_e32 v26, v57, v31
	v_mad_u64_u32 v[28:29], null, s12, v46, 0
	v_add_co_u32 v24, vcc_lo, v112, v24
	s_delay_alu instid0(VALU_DEP_3)
	v_mad_u32_u24 v47, 0x97e, v30, v26
	v_mov_b32_e32 v52, v27
	v_lshlrev_b64 v[30:31], 4, v[48:49]
	v_add_nc_u32_e32 v48, 0x288, v170
	v_mov_b32_e32 v26, v29
	v_mad_u64_u32 v[40:41], null, s12, v47, 0
	v_lshlrev_b64 v[42:43], 4, v[51:52]
	v_fma_f64 v[84:85], v[197:198], s[10:11], v[114:115]
	v_add_co_ci_u32_e32 v25, vcc_lo, v113, v25, vcc_lo
	v_add_co_u32 v30, vcc_lo, v112, v30
	v_mad_u64_u32 v[44:45], null, s13, v46, v[26:27]
	v_mul_hi_u32 v27, 0x50e89cc3, v48
	v_add_co_ci_u32_e32 v31, vcc_lo, v113, v31, vcc_lo
	v_mov_b32_e32 v26, v41
	v_add_co_u32 v41, vcc_lo, v112, v42
	v_add_co_ci_u32_e32 v42, vcc_lo, v113, v43, vcc_lo
	s_clause 0x2
	global_store_b128 v[24:25], v[92:95], off
	global_store_b128 v[30:31], v[36:39], off
	;; [unrolled: 1-line block ×3, first 2 shown]
	v_lshrrev_b32_e32 v36, 8, v27
	v_mad_u64_u32 v[45:46], null, s13, v47, v[26:27]
	v_dual_mov_b32 v29, v44 :: v_dual_add_nc_u32 v38, 0x32a, v47
	v_add_nc_u32_e32 v39, 0x654, v47
	s_delay_alu instid0(VALU_DEP_4) | instskip(SKIP_1) | instid1(VALU_DEP_4)
	v_mul_u32_u24_e32 v30, 0x32a, v36
	v_fma_f64 v[22:23], v[160:161], s[10:11], v[106:107]
	v_lshlrev_b64 v[24:25], 4, v[28:29]
	v_mad_u64_u32 v[26:27], null, s12, v38, 0
	v_mad_u64_u32 v[28:29], null, s12, v39, 0
	v_mov_b32_e32 v41, v45
	v_sub_nc_u32_e32 v37, v48, v30
	v_add_co_u32 v24, vcc_lo, v112, v24
	v_add_co_ci_u32_e32 v25, vcc_lo, v113, v25, vcc_lo
	s_delay_alu instid0(VALU_DEP_4) | instskip(NEXT) | instid1(VALU_DEP_4)
	v_lshlrev_b64 v[30:31], 4, v[40:41]
	v_mad_u32_u24 v40, 0x97e, v36, v37
	v_mad_u64_u32 v[36:37], null, s13, v38, v[27:28]
	v_add_nc_u32_e32 v41, 0x2d9, v170
	global_store_b128 v[24:25], v[84:87], off
	v_mad_u64_u32 v[37:38], null, s13, v39, v[29:30]
	v_mad_u64_u32 v[38:39], null, s12, v40, 0
	v_mov_b32_e32 v27, v36
	v_add_co_u32 v30, vcc_lo, v112, v30
	v_mul_hi_u32 v36, 0x50e89cc3, v41
	v_add_co_ci_u32_e32 v31, vcc_lo, v113, v31, vcc_lo
	s_delay_alu instid0(VALU_DEP_4)
	v_lshlrev_b64 v[25:26], 4, v[26:27]
	v_dual_mov_b32 v29, v37 :: v_dual_mov_b32 v24, v39
	global_store_b128 v[30:31], v[32:35], off
	v_add_nc_u32_e32 v34, 0x32a, v40
	v_add_nc_u32_e32 v35, 0x654, v40
	v_lshlrev_b64 v[27:28], 4, v[28:29]
	v_mad_u64_u32 v[29:30], null, s13, v40, v[24:25]
	v_lshrrev_b32_e32 v30, 8, v36
	v_add_co_u32 v24, vcc_lo, v112, v25
	v_add_co_ci_u32_e32 v25, vcc_lo, v113, v26, vcc_lo
	s_delay_alu instid0(VALU_DEP_3)
	v_mul_u32_u24_e32 v31, 0x32a, v30
	v_mov_b32_e32 v39, v29
	v_add_co_u32 v26, vcc_lo, v112, v27
	global_store_b128 v[24:25], v[80:83], off
	v_sub_nc_u32_e32 v31, v41, v31
	v_lshlrev_b64 v[24:25], 4, v[38:39]
	v_add_co_ci_u32_e32 v27, vcc_lo, v113, v28, vcc_lo
	v_mad_u64_u32 v[28:29], null, s12, v34, 0
	s_delay_alu instid0(VALU_DEP_4)
	v_mad_u32_u24 v38, 0x97e, v30, v31
	global_store_b128 v[26:27], v[76:79], off
	v_mad_u64_u32 v[26:27], null, s12, v35, 0
	v_add_co_u32 v24, vcc_lo, v112, v24
	v_mad_u64_u32 v[30:31], null, s12, v38, 0
	v_add_nc_u32_e32 v39, 0x32a, v38
	v_add_nc_u32_e32 v40, 0x654, v38
	v_add_co_ci_u32_e32 v25, vcc_lo, v113, v25, vcc_lo
	v_fma_f64 v[18:19], v[160:161], s[4:5], v[106:107]
	v_fma_f64 v[14:15], v[138:139], s[10:11], v[108:109]
	v_mad_u64_u32 v[32:33], null, s13, v34, v[29:30]
	v_mad_u64_u32 v[33:34], null, s13, v35, v[27:28]
	v_mov_b32_e32 v27, v31
	v_mad_u64_u32 v[34:35], null, s12, v39, 0
	v_fma_f64 v[10:11], v[138:139], s[4:5], v[108:109]
	v_mov_b32_e32 v29, v32
	s_delay_alu instid0(VALU_DEP_4)
	v_mad_u64_u32 v[36:37], null, s13, v38, v[27:28]
	v_mad_u64_u32 v[37:38], null, s12, v40, 0
	global_store_b128 v[24:25], v[4:7], off
	v_lshlrev_b64 v[5:6], 4, v[28:29]
	v_dual_mov_b32 v4, v35 :: v_dual_mov_b32 v27, v33
	v_mov_b32_e32 v31, v36
	s_delay_alu instid0(VALU_DEP_2)
	v_mad_u64_u32 v[24:25], null, s13, v39, v[4:5]
	v_mov_b32_e32 v4, v38
	v_add_co_u32 v5, vcc_lo, v112, v5
	v_lshlrev_b64 v[25:26], 4, v[26:27]
	v_add_co_ci_u32_e32 v6, vcc_lo, v113, v6, vcc_lo
	v_mov_b32_e32 v35, v24
	s_delay_alu instid0(VALU_DEP_4)
	v_mad_u64_u32 v[27:28], null, s13, v40, v[4:5]
	v_lshlrev_b64 v[28:29], 4, v[30:31]
	v_add_co_u32 v24, vcc_lo, v112, v25
	v_add_co_ci_u32_e32 v25, vcc_lo, v113, v26, vcc_lo
	v_lshlrev_b64 v[30:31], 4, v[34:35]
	v_mov_b32_e32 v38, v27
	v_add_co_u32 v26, vcc_lo, v112, v28
	v_add_co_ci_u32_e32 v27, vcc_lo, v113, v29, vcc_lo
	s_delay_alu instid0(VALU_DEP_3) | instskip(SKIP_2) | instid1(VALU_DEP_3)
	v_lshlrev_b64 v[28:29], 4, v[37:38]
	v_add_co_u32 v30, vcc_lo, v112, v30
	v_add_co_ci_u32_e32 v31, vcc_lo, v113, v31, vcc_lo
	v_add_co_u32 v28, vcc_lo, v112, v28
	s_delay_alu instid0(VALU_DEP_4)
	v_add_co_ci_u32_e32 v29, vcc_lo, v113, v29, vcc_lo
	s_clause 0x4
	global_store_b128 v[5:6], v[20:23], off
	global_store_b128 v[24:25], v[16:19], off
	;; [unrolled: 1-line block ×5, first 2 shown]
.LBB0_15:
	s_nop 0
	s_sendmsg sendmsg(MSG_DEALLOC_VGPRS)
	s_endpgm
	.section	.rodata,"a",@progbits
	.p2align	6, 0x0
	.amdhsa_kernel fft_rtc_back_len2430_factors_10_3_3_3_3_3_wgs_81_tpt_81_halfLds_dp_op_CI_CI_sbrr_dirReg
		.amdhsa_group_segment_fixed_size 0
		.amdhsa_private_segment_fixed_size 0
		.amdhsa_kernarg_size 104
		.amdhsa_user_sgpr_count 15
		.amdhsa_user_sgpr_dispatch_ptr 0
		.amdhsa_user_sgpr_queue_ptr 0
		.amdhsa_user_sgpr_kernarg_segment_ptr 1
		.amdhsa_user_sgpr_dispatch_id 0
		.amdhsa_user_sgpr_private_segment_size 0
		.amdhsa_wavefront_size32 1
		.amdhsa_uses_dynamic_stack 0
		.amdhsa_enable_private_segment 0
		.amdhsa_system_sgpr_workgroup_id_x 1
		.amdhsa_system_sgpr_workgroup_id_y 0
		.amdhsa_system_sgpr_workgroup_id_z 0
		.amdhsa_system_sgpr_workgroup_info 0
		.amdhsa_system_vgpr_workitem_id 0
		.amdhsa_next_free_vgpr 252
		.amdhsa_next_free_sgpr 31
		.amdhsa_reserve_vcc 1
		.amdhsa_float_round_mode_32 0
		.amdhsa_float_round_mode_16_64 0
		.amdhsa_float_denorm_mode_32 3
		.amdhsa_float_denorm_mode_16_64 3
		.amdhsa_dx10_clamp 1
		.amdhsa_ieee_mode 1
		.amdhsa_fp16_overflow 0
		.amdhsa_workgroup_processor_mode 1
		.amdhsa_memory_ordered 1
		.amdhsa_forward_progress 0
		.amdhsa_shared_vgpr_count 0
		.amdhsa_exception_fp_ieee_invalid_op 0
		.amdhsa_exception_fp_denorm_src 0
		.amdhsa_exception_fp_ieee_div_zero 0
		.amdhsa_exception_fp_ieee_overflow 0
		.amdhsa_exception_fp_ieee_underflow 0
		.amdhsa_exception_fp_ieee_inexact 0
		.amdhsa_exception_int_div_zero 0
	.end_amdhsa_kernel
	.text
.Lfunc_end0:
	.size	fft_rtc_back_len2430_factors_10_3_3_3_3_3_wgs_81_tpt_81_halfLds_dp_op_CI_CI_sbrr_dirReg, .Lfunc_end0-fft_rtc_back_len2430_factors_10_3_3_3_3_3_wgs_81_tpt_81_halfLds_dp_op_CI_CI_sbrr_dirReg
                                        ; -- End function
	.section	.AMDGPU.csdata,"",@progbits
; Kernel info:
; codeLenInByte = 27248
; NumSgprs: 33
; NumVgprs: 252
; ScratchSize: 0
; MemoryBound: 1
; FloatMode: 240
; IeeeMode: 1
; LDSByteSize: 0 bytes/workgroup (compile time only)
; SGPRBlocks: 4
; VGPRBlocks: 31
; NumSGPRsForWavesPerEU: 33
; NumVGPRsForWavesPerEU: 252
; Occupancy: 5
; WaveLimiterHint : 1
; COMPUTE_PGM_RSRC2:SCRATCH_EN: 0
; COMPUTE_PGM_RSRC2:USER_SGPR: 15
; COMPUTE_PGM_RSRC2:TRAP_HANDLER: 0
; COMPUTE_PGM_RSRC2:TGID_X_EN: 1
; COMPUTE_PGM_RSRC2:TGID_Y_EN: 0
; COMPUTE_PGM_RSRC2:TGID_Z_EN: 0
; COMPUTE_PGM_RSRC2:TIDIG_COMP_CNT: 0
	.text
	.p2alignl 7, 3214868480
	.fill 96, 4, 3214868480
	.type	__hip_cuid_fbc2edb59956c27c,@object ; @__hip_cuid_fbc2edb59956c27c
	.section	.bss,"aw",@nobits
	.globl	__hip_cuid_fbc2edb59956c27c
__hip_cuid_fbc2edb59956c27c:
	.byte	0                               ; 0x0
	.size	__hip_cuid_fbc2edb59956c27c, 1

	.ident	"AMD clang version 19.0.0git (https://github.com/RadeonOpenCompute/llvm-project roc-6.4.0 25133 c7fe45cf4b819c5991fe208aaa96edf142730f1d)"
	.section	".note.GNU-stack","",@progbits
	.addrsig
	.addrsig_sym __hip_cuid_fbc2edb59956c27c
	.amdgpu_metadata
---
amdhsa.kernels:
  - .args:
      - .actual_access:  read_only
        .address_space:  global
        .offset:         0
        .size:           8
        .value_kind:     global_buffer
      - .offset:         8
        .size:           8
        .value_kind:     by_value
      - .actual_access:  read_only
        .address_space:  global
        .offset:         16
        .size:           8
        .value_kind:     global_buffer
      - .actual_access:  read_only
        .address_space:  global
        .offset:         24
        .size:           8
        .value_kind:     global_buffer
      - .actual_access:  read_only
        .address_space:  global
        .offset:         32
        .size:           8
        .value_kind:     global_buffer
      - .offset:         40
        .size:           8
        .value_kind:     by_value
      - .actual_access:  read_only
        .address_space:  global
        .offset:         48
        .size:           8
        .value_kind:     global_buffer
      - .actual_access:  read_only
        .address_space:  global
        .offset:         56
        .size:           8
        .value_kind:     global_buffer
      - .offset:         64
        .size:           4
        .value_kind:     by_value
      - .actual_access:  read_only
        .address_space:  global
        .offset:         72
        .size:           8
        .value_kind:     global_buffer
      - .actual_access:  read_only
        .address_space:  global
        .offset:         80
        .size:           8
        .value_kind:     global_buffer
      - .actual_access:  read_only
        .address_space:  global
        .offset:         88
        .size:           8
        .value_kind:     global_buffer
      - .actual_access:  write_only
        .address_space:  global
        .offset:         96
        .size:           8
        .value_kind:     global_buffer
    .group_segment_fixed_size: 0
    .kernarg_segment_align: 8
    .kernarg_segment_size: 104
    .language:       OpenCL C
    .language_version:
      - 2
      - 0
    .max_flat_workgroup_size: 81
    .name:           fft_rtc_back_len2430_factors_10_3_3_3_3_3_wgs_81_tpt_81_halfLds_dp_op_CI_CI_sbrr_dirReg
    .private_segment_fixed_size: 0
    .sgpr_count:     33
    .sgpr_spill_count: 0
    .symbol:         fft_rtc_back_len2430_factors_10_3_3_3_3_3_wgs_81_tpt_81_halfLds_dp_op_CI_CI_sbrr_dirReg.kd
    .uniform_work_group_size: 1
    .uses_dynamic_stack: false
    .vgpr_count:     252
    .vgpr_spill_count: 0
    .wavefront_size: 32
    .workgroup_processor_mode: 1
amdhsa.target:   amdgcn-amd-amdhsa--gfx1100
amdhsa.version:
  - 1
  - 2
...

	.end_amdgpu_metadata
